;; amdgpu-corpus repo=ROCm/rocFFT kind=compiled arch=gfx906 opt=O3
	.text
	.amdgcn_target "amdgcn-amd-amdhsa--gfx906"
	.amdhsa_code_object_version 6
	.protected	fft_rtc_back_len1375_factors_11_5_5_5_wgs_55_tpt_55_halfLds_sp_ip_CI_sbrr_dirReg ; -- Begin function fft_rtc_back_len1375_factors_11_5_5_5_wgs_55_tpt_55_halfLds_sp_ip_CI_sbrr_dirReg
	.globl	fft_rtc_back_len1375_factors_11_5_5_5_wgs_55_tpt_55_halfLds_sp_ip_CI_sbrr_dirReg
	.p2align	8
	.type	fft_rtc_back_len1375_factors_11_5_5_5_wgs_55_tpt_55_halfLds_sp_ip_CI_sbrr_dirReg,@function
fft_rtc_back_len1375_factors_11_5_5_5_wgs_55_tpt_55_halfLds_sp_ip_CI_sbrr_dirReg: ; @fft_rtc_back_len1375_factors_11_5_5_5_wgs_55_tpt_55_halfLds_sp_ip_CI_sbrr_dirReg
; %bb.0:
	s_load_dwordx2 s[14:15], s[4:5], 0x18
	s_load_dwordx4 s[8:11], s[4:5], 0x0
	s_load_dwordx2 s[12:13], s[4:5], 0x50
	v_mul_u32_u24_e32 v1, 0x4a8, v0
	v_add_u32_sdwa v5, s6, v1 dst_sel:DWORD dst_unused:UNUSED_PAD src0_sel:DWORD src1_sel:WORD_1
	s_waitcnt lgkmcnt(0)
	s_load_dwordx2 s[2:3], s[14:15], 0x0
	v_cmp_lt_u64_e64 s[0:1], s[10:11], 2
	v_mov_b32_e32 v3, 0
	v_mov_b32_e32 v1, 0
	;; [unrolled: 1-line block ×3, first 2 shown]
	s_and_b64 vcc, exec, s[0:1]
	v_mov_b32_e32 v2, 0
	s_cbranch_vccnz .LBB0_8
; %bb.1:
	s_load_dwordx2 s[0:1], s[4:5], 0x10
	s_add_u32 s6, s14, 8
	s_addc_u32 s7, s15, 0
	v_mov_b32_e32 v1, 0
	v_mov_b32_e32 v2, 0
	s_waitcnt lgkmcnt(0)
	s_add_u32 s16, s0, 8
	s_addc_u32 s17, s1, 0
	s_mov_b64 s[18:19], 1
.LBB0_2:                                ; =>This Inner Loop Header: Depth=1
	s_load_dwordx2 s[20:21], s[16:17], 0x0
                                        ; implicit-def: $vgpr7_vgpr8
	s_waitcnt lgkmcnt(0)
	v_or_b32_e32 v4, s21, v6
	v_cmp_ne_u64_e32 vcc, 0, v[3:4]
	s_and_saveexec_b64 s[0:1], vcc
	s_xor_b64 s[22:23], exec, s[0:1]
	s_cbranch_execz .LBB0_4
; %bb.3:                                ;   in Loop: Header=BB0_2 Depth=1
	v_cvt_f32_u32_e32 v4, s20
	v_cvt_f32_u32_e32 v7, s21
	s_sub_u32 s0, 0, s20
	s_subb_u32 s1, 0, s21
	v_mac_f32_e32 v4, 0x4f800000, v7
	v_rcp_f32_e32 v4, v4
	v_mul_f32_e32 v4, 0x5f7ffffc, v4
	v_mul_f32_e32 v7, 0x2f800000, v4
	v_trunc_f32_e32 v7, v7
	v_mac_f32_e32 v4, 0xcf800000, v7
	v_cvt_u32_f32_e32 v7, v7
	v_cvt_u32_f32_e32 v4, v4
	v_mul_lo_u32 v8, s0, v7
	v_mul_hi_u32 v9, s0, v4
	v_mul_lo_u32 v11, s1, v4
	v_mul_lo_u32 v10, s0, v4
	v_add_u32_e32 v8, v9, v8
	v_add_u32_e32 v8, v8, v11
	v_mul_hi_u32 v9, v4, v10
	v_mul_lo_u32 v11, v4, v8
	v_mul_hi_u32 v13, v4, v8
	v_mul_hi_u32 v12, v7, v10
	v_mul_lo_u32 v10, v7, v10
	v_mul_hi_u32 v14, v7, v8
	v_add_co_u32_e32 v9, vcc, v9, v11
	v_addc_co_u32_e32 v11, vcc, 0, v13, vcc
	v_mul_lo_u32 v8, v7, v8
	v_add_co_u32_e32 v9, vcc, v9, v10
	v_addc_co_u32_e32 v9, vcc, v11, v12, vcc
	v_addc_co_u32_e32 v10, vcc, 0, v14, vcc
	v_add_co_u32_e32 v8, vcc, v9, v8
	v_addc_co_u32_e32 v9, vcc, 0, v10, vcc
	v_add_co_u32_e32 v4, vcc, v4, v8
	v_addc_co_u32_e32 v7, vcc, v7, v9, vcc
	v_mul_lo_u32 v8, s0, v7
	v_mul_hi_u32 v9, s0, v4
	v_mul_lo_u32 v10, s1, v4
	v_mul_lo_u32 v11, s0, v4
	v_add_u32_e32 v8, v9, v8
	v_add_u32_e32 v8, v8, v10
	v_mul_lo_u32 v12, v4, v8
	v_mul_hi_u32 v13, v4, v11
	v_mul_hi_u32 v14, v4, v8
	;; [unrolled: 1-line block ×3, first 2 shown]
	v_mul_lo_u32 v11, v7, v11
	v_mul_hi_u32 v9, v7, v8
	v_add_co_u32_e32 v12, vcc, v13, v12
	v_addc_co_u32_e32 v13, vcc, 0, v14, vcc
	v_mul_lo_u32 v8, v7, v8
	v_add_co_u32_e32 v11, vcc, v12, v11
	v_addc_co_u32_e32 v10, vcc, v13, v10, vcc
	v_addc_co_u32_e32 v9, vcc, 0, v9, vcc
	v_add_co_u32_e32 v8, vcc, v10, v8
	v_addc_co_u32_e32 v9, vcc, 0, v9, vcc
	v_add_co_u32_e32 v4, vcc, v4, v8
	v_addc_co_u32_e32 v9, vcc, v7, v9, vcc
	v_mad_u64_u32 v[7:8], s[0:1], v5, v9, 0
	v_mul_hi_u32 v10, v5, v4
	v_add_co_u32_e32 v11, vcc, v10, v7
	v_addc_co_u32_e32 v12, vcc, 0, v8, vcc
	v_mad_u64_u32 v[7:8], s[0:1], v6, v4, 0
	v_mad_u64_u32 v[9:10], s[0:1], v6, v9, 0
	v_add_co_u32_e32 v4, vcc, v11, v7
	v_addc_co_u32_e32 v4, vcc, v12, v8, vcc
	v_addc_co_u32_e32 v7, vcc, 0, v10, vcc
	v_add_co_u32_e32 v4, vcc, v4, v9
	v_addc_co_u32_e32 v9, vcc, 0, v7, vcc
	v_mul_lo_u32 v10, s21, v4
	v_mul_lo_u32 v11, s20, v9
	v_mad_u64_u32 v[7:8], s[0:1], s20, v4, 0
	v_add3_u32 v8, v8, v11, v10
	v_sub_u32_e32 v10, v6, v8
	v_mov_b32_e32 v11, s21
	v_sub_co_u32_e32 v7, vcc, v5, v7
	v_subb_co_u32_e64 v10, s[0:1], v10, v11, vcc
	v_subrev_co_u32_e64 v11, s[0:1], s20, v7
	v_subbrev_co_u32_e64 v10, s[0:1], 0, v10, s[0:1]
	v_cmp_le_u32_e64 s[0:1], s21, v10
	v_cndmask_b32_e64 v12, 0, -1, s[0:1]
	v_cmp_le_u32_e64 s[0:1], s20, v11
	v_cndmask_b32_e64 v11, 0, -1, s[0:1]
	v_cmp_eq_u32_e64 s[0:1], s21, v10
	v_cndmask_b32_e64 v10, v12, v11, s[0:1]
	v_add_co_u32_e64 v11, s[0:1], 2, v4
	v_addc_co_u32_e64 v12, s[0:1], 0, v9, s[0:1]
	v_add_co_u32_e64 v13, s[0:1], 1, v4
	v_addc_co_u32_e64 v14, s[0:1], 0, v9, s[0:1]
	v_subb_co_u32_e32 v8, vcc, v6, v8, vcc
	v_cmp_ne_u32_e64 s[0:1], 0, v10
	v_cmp_le_u32_e32 vcc, s21, v8
	v_cndmask_b32_e64 v10, v14, v12, s[0:1]
	v_cndmask_b32_e64 v12, 0, -1, vcc
	v_cmp_le_u32_e32 vcc, s20, v7
	v_cndmask_b32_e64 v7, 0, -1, vcc
	v_cmp_eq_u32_e32 vcc, s21, v8
	v_cndmask_b32_e32 v7, v12, v7, vcc
	v_cmp_ne_u32_e32 vcc, 0, v7
	v_cndmask_b32_e64 v7, v13, v11, s[0:1]
	v_cndmask_b32_e32 v8, v9, v10, vcc
	v_cndmask_b32_e32 v7, v4, v7, vcc
.LBB0_4:                                ;   in Loop: Header=BB0_2 Depth=1
	s_andn2_saveexec_b64 s[0:1], s[22:23]
	s_cbranch_execz .LBB0_6
; %bb.5:                                ;   in Loop: Header=BB0_2 Depth=1
	v_cvt_f32_u32_e32 v4, s20
	s_sub_i32 s22, 0, s20
	v_rcp_iflag_f32_e32 v4, v4
	v_mul_f32_e32 v4, 0x4f7ffffe, v4
	v_cvt_u32_f32_e32 v4, v4
	v_mul_lo_u32 v7, s22, v4
	v_mul_hi_u32 v7, v4, v7
	v_add_u32_e32 v4, v4, v7
	v_mul_hi_u32 v4, v5, v4
	v_mul_lo_u32 v7, v4, s20
	v_add_u32_e32 v8, 1, v4
	v_sub_u32_e32 v7, v5, v7
	v_subrev_u32_e32 v9, s20, v7
	v_cmp_le_u32_e32 vcc, s20, v7
	v_cndmask_b32_e32 v7, v7, v9, vcc
	v_cndmask_b32_e32 v4, v4, v8, vcc
	v_add_u32_e32 v8, 1, v4
	v_cmp_le_u32_e32 vcc, s20, v7
	v_cndmask_b32_e32 v7, v4, v8, vcc
	v_mov_b32_e32 v8, v3
.LBB0_6:                                ;   in Loop: Header=BB0_2 Depth=1
	s_or_b64 exec, exec, s[0:1]
	v_mul_lo_u32 v4, v8, s20
	v_mul_lo_u32 v11, v7, s21
	v_mad_u64_u32 v[9:10], s[0:1], v7, s20, 0
	s_load_dwordx2 s[0:1], s[6:7], 0x0
	s_add_u32 s18, s18, 1
	v_add3_u32 v4, v10, v11, v4
	v_sub_co_u32_e32 v5, vcc, v5, v9
	v_subb_co_u32_e32 v4, vcc, v6, v4, vcc
	s_waitcnt lgkmcnt(0)
	v_mul_lo_u32 v4, s0, v4
	v_mul_lo_u32 v6, s1, v5
	v_mad_u64_u32 v[1:2], s[0:1], s0, v5, v[1:2]
	s_addc_u32 s19, s19, 0
	s_add_u32 s6, s6, 8
	v_add3_u32 v2, v6, v2, v4
	v_mov_b32_e32 v4, s10
	v_mov_b32_e32 v5, s11
	s_addc_u32 s7, s7, 0
	v_cmp_ge_u64_e32 vcc, s[18:19], v[4:5]
	s_add_u32 s16, s16, 8
	s_addc_u32 s17, s17, 0
	s_cbranch_vccnz .LBB0_9
; %bb.7:                                ;   in Loop: Header=BB0_2 Depth=1
	v_mov_b32_e32 v5, v7
	v_mov_b32_e32 v6, v8
	s_branch .LBB0_2
.LBB0_8:
	v_mov_b32_e32 v8, v6
	v_mov_b32_e32 v7, v5
.LBB0_9:
	s_lshl_b64 s[0:1], s[10:11], 3
	s_add_u32 s0, s14, s0
	s_addc_u32 s1, s15, s1
	s_load_dwordx2 s[6:7], s[0:1], 0x0
	s_load_dwordx2 s[10:11], s[4:5], 0x20
                                        ; implicit-def: $vgpr70
	s_waitcnt lgkmcnt(0)
	v_mad_u64_u32 v[1:2], s[0:1], s6, v7, v[1:2]
	s_mov_b32 s0, 0x4a7904b
	v_mul_lo_u32 v3, s6, v8
	v_mul_lo_u32 v4, s7, v7
	v_mul_hi_u32 v5, v0, s0
	v_cmp_gt_u64_e32 vcc, s[10:11], v[7:8]
	v_cmp_le_u64_e64 s[0:1], s[10:11], v[7:8]
	v_add3_u32 v2, v4, v2, v3
	v_mul_u32_u24_e32 v3, 55, v5
	v_sub_u32_e32 v68, v0, v3
	v_add_u32_e32 v69, 55, v68
                                        ; implicit-def: $sgpr6
	s_and_saveexec_b64 s[4:5], s[0:1]
	s_xor_b64 s[0:1], exec, s[4:5]
; %bb.10:
	v_add_u32_e32 v70, 55, v68
	s_mov_b32 s6, 0
; %bb.11:
	s_or_saveexec_b64 s[4:5], s[0:1]
	v_lshlrev_b64 v[0:1], 3, v[1:2]
	v_mov_b32_e32 v3, s6
	v_mov_b32_e32 v2, s6
                                        ; implicit-def: $vgpr53
                                        ; implicit-def: $vgpr61
                                        ; implicit-def: $vgpr57
                                        ; implicit-def: $vgpr47
                                        ; implicit-def: $vgpr41
                                        ; implicit-def: $vgpr37
                                        ; implicit-def: $vgpr17
                                        ; implicit-def: $vgpr31
                                        ; implicit-def: $vgpr33
                                        ; implicit-def: $vgpr25
                                        ; implicit-def: $vgpr23
                                        ; implicit-def: $vgpr11
                                        ; implicit-def: $vgpr29
                                        ; implicit-def: $vgpr13
                                        ; implicit-def: $vgpr5
                                        ; implicit-def: $vgpr19
                                        ; implicit-def: $vgpr7
                                        ; implicit-def: $vgpr55
                                        ; implicit-def: $vgpr45
                                        ; implicit-def: $vgpr39
                                        ; implicit-def: $vgpr21
                                        ; implicit-def: $vgpr9
                                        ; implicit-def: $vgpr49
                                        ; implicit-def: $vgpr43
                                        ; implicit-def: $vgpr35
                                        ; implicit-def: $vgpr27
                                        ; implicit-def: $vgpr15
                                        ; implicit-def: $vgpr67
                                        ; implicit-def: $vgpr65
                                        ; implicit-def: $vgpr63
                                        ; implicit-def: $vgpr59
                                        ; implicit-def: $vgpr51
	s_xor_b64 exec, exec, s[4:5]
	s_cbranch_execz .LBB0_15
; %bb.12:
	v_mad_u64_u32 v[2:3], s[0:1], s2, v68, 0
	v_add_u32_e32 v7, 0x7d, v68
	v_mov_b32_e32 v6, s13
	v_mad_u64_u32 v[3:4], s[0:1], s3, v68, v[3:4]
	v_mad_u64_u32 v[4:5], s[0:1], s2, v7, 0
	v_add_co_u32_e64 v39, s[0:1], s12, v0
	v_addc_co_u32_e64 v45, s[0:1], v6, v1, s[0:1]
	v_mad_u64_u32 v[5:6], s[0:1], s3, v7, v[5:6]
	v_add_u32_e32 v8, 0xfa, v68
	v_mad_u64_u32 v[6:7], s[0:1], s2, v8, 0
	v_lshlrev_b64 v[2:3], 3, v[2:3]
	v_add_u32_e32 v10, 0x177, v68
	v_add_co_u32_e64 v2, s[0:1], v39, v2
	v_addc_co_u32_e64 v3, s[0:1], v45, v3, s[0:1]
	v_mad_u64_u32 v[7:8], s[0:1], s3, v8, v[7:8]
	v_mad_u64_u32 v[8:9], s[0:1], s2, v10, 0
	v_lshlrev_b64 v[4:5], 3, v[4:5]
	v_add_u32_e32 v12, 0x1f4, v68
	v_add_co_u32_e64 v4, s[0:1], v39, v4
	v_addc_co_u32_e64 v5, s[0:1], v45, v5, s[0:1]
	v_mad_u64_u32 v[9:10], s[0:1], s3, v10, v[9:10]
	;; [unrolled: 6-line block ×7, first 2 shown]
	v_mad_u64_u32 v[20:21], s[0:1], s2, v24, 0
	v_lshlrev_b64 v[16:17], 3, v[16:17]
                                        ; implicit-def: $vgpr38
                                        ; implicit-def: $vgpr44
	v_add_co_u32_e64 v22, s[0:1], v39, v16
	v_addc_co_u32_e64 v23, s[0:1], v45, v17, s[0:1]
	v_lshlrev_b64 v[16:17], 3, v[18:19]
	v_mov_b32_e32 v18, v21
	v_mad_u64_u32 v[18:19], s[0:1], s3, v24, v[18:19]
	v_add_u32_e32 v19, 0x4e2, v68
	v_mad_u64_u32 v[24:25], s[0:1], s2, v19, 0
	v_add_co_u32_e64 v26, s[0:1], v39, v16
	v_mov_b32_e32 v21, v18
	v_mov_b32_e32 v18, v25
	v_addc_co_u32_e64 v27, s[0:1], v45, v17, s[0:1]
	v_mad_u64_u32 v[18:19], s[0:1], s3, v19, v[18:19]
	v_lshlrev_b64 v[16:17], 3, v[20:21]
	v_mad_u64_u32 v[19:20], s[0:1], s2, v69, 0
	v_add_co_u32_e64 v28, s[0:1], v39, v16
	v_mov_b32_e32 v25, v18
	v_mov_b32_e32 v18, v20
	v_addc_co_u32_e64 v29, s[0:1], v45, v17, s[0:1]
	v_mad_u64_u32 v[20:21], s[0:1], s3, v69, v[18:19]
	v_add_u32_e32 v21, 0xb4, v68
	v_lshlrev_b64 v[16:17], 3, v[24:25]
	v_mad_u64_u32 v[24:25], s[0:1], s2, v21, 0
	v_add_co_u32_e64 v34, s[0:1], v39, v16
	v_mov_b32_e32 v18, v25
	v_addc_co_u32_e64 v35, s[0:1], v45, v17, s[0:1]
	v_lshlrev_b64 v[16:17], 3, v[19:20]
	v_mad_u64_u32 v[18:19], s[0:1], s3, v21, v[18:19]
	v_add_u32_e32 v21, 0x131, v68
	v_mad_u64_u32 v[19:20], s[0:1], s2, v21, 0
	v_add_co_u32_e64 v42, s[0:1], v39, v16
	v_mov_b32_e32 v25, v18
	v_mov_b32_e32 v18, v20
	v_addc_co_u32_e64 v43, s[0:1], v45, v17, s[0:1]
	v_mad_u64_u32 v[20:21], s[0:1], s3, v21, v[18:19]
	v_add_u32_e32 v21, 0x1ae, v68
	v_lshlrev_b64 v[16:17], 3, v[24:25]
	v_mad_u64_u32 v[24:25], s[0:1], s2, v21, 0
	v_add_co_u32_e64 v48, s[0:1], v39, v16
	v_mov_b32_e32 v18, v25
	v_addc_co_u32_e64 v49, s[0:1], v45, v17, s[0:1]
	v_lshlrev_b64 v[16:17], 3, v[19:20]
	v_mad_u64_u32 v[18:19], s[0:1], s3, v21, v[18:19]
	v_add_u32_e32 v21, 0x22b, v68
	;; [unrolled: 15-line block ×5, first 2 shown]
	v_mad_u64_u32 v[19:20], s[0:1], s2, v21, 0
	v_add_co_u32_e64 v80, s[0:1], v39, v16
	v_mov_b32_e32 v25, v18
	v_mov_b32_e32 v18, v20
	v_addc_co_u32_e64 v81, s[0:1], v45, v17, s[0:1]
	v_mad_u64_u32 v[20:21], s[0:1], s3, v21, v[18:19]
	v_lshlrev_b64 v[16:17], 3, v[24:25]
	v_add_co_u32_e64 v82, s[0:1], v39, v16
	v_addc_co_u32_e64 v83, s[0:1], v45, v17, s[0:1]
	v_lshlrev_b64 v[16:17], 3, v[19:20]
                                        ; implicit-def: $vgpr20
	v_add_co_u32_e64 v18, s[0:1], v39, v16
	v_addc_co_u32_e64 v19, s[0:1], v45, v17, s[0:1]
	global_load_dwordx2 v[52:53], v[2:3], off
	global_load_dwordx2 v[60:61], v[4:5], off
	;; [unrolled: 1-line block ×15, first 2 shown]
                                        ; kill: killed $vgpr42 killed $vgpr43
                                        ; kill: killed $vgpr22 killed $vgpr23
                                        ; kill: killed $vgpr6 killed $vgpr7
                                        ; kill: killed $vgpr54 killed $vgpr55
                                        ; kill: killed $vgpr28 killed $vgpr29
                                        ; kill: killed $vgpr10 killed $vgpr11
                                        ; kill: killed $vgpr14 killed $vgpr15
                                        ; kill: killed $vgpr4 killed $vgpr5
                                        ; kill: killed $vgpr48 killed $vgpr49
                                        ; kill: killed $vgpr26 killed $vgpr27
                                        ; kill: killed $vgpr8 killed $vgpr9
                                        ; kill: killed $vgpr70 killed $vgpr71
                                        ; kill: killed $vgpr34 killed $vgpr35
                                        ; kill: killed $vgpr12 killed $vgpr13
                                        ; kill: killed $vgpr2 killed $vgpr3
	global_load_dwordx2 v[22:23], v[72:73], off
	global_load_dwordx2 v[10:11], v[74:75], off
	;; [unrolled: 1-line block ×7, first 2 shown]
	v_cmp_gt_u32_e64 s[0:1], 15, v68
	v_mov_b32_e32 v2, 0
	v_mov_b32_e32 v3, 0
                                        ; implicit-def: $vgpr8
                                        ; implicit-def: $vgpr54
                                        ; implicit-def: $vgpr6
                                        ; implicit-def: $vgpr18
                                        ; implicit-def: $vgpr4
                                        ; implicit-def: $vgpr12
                                        ; implicit-def: $vgpr28
	s_and_saveexec_b64 s[6:7], s[0:1]
	s_cbranch_execz .LBB0_14
; %bb.13:
	v_add_u32_e32 v6, 0x6e, v68
	v_add_u32_e32 v8, 0xeb, v68
	v_mad_u64_u32 v[2:3], s[0:1], s2, v6, 0
	v_mad_u64_u32 v[4:5], s[0:1], s2, v8, 0
	v_add_u32_e32 v12, 0x168, v68
	v_add_u32_e32 v38, 0x2df, v68
	v_mad_u64_u32 v[6:7], s[0:1], s3, v6, v[3:4]
	v_add_u32_e32 v44, 0x4d3, v68
	v_mov_b32_e32 v3, v6
	v_mad_u64_u32 v[5:6], s[0:1], s3, v8, v[5:6]
	v_mad_u64_u32 v[6:7], s[0:1], s2, v12, 0
	v_lshlrev_b64 v[2:3], 3, v[2:3]
	v_add_co_u32_e64 v8, s[0:1], v39, v2
	v_addc_co_u32_e64 v9, s[0:1], v45, v3, s[0:1]
	v_lshlrev_b64 v[2:3], 3, v[4:5]
	v_mov_b32_e32 v4, v7
	v_mad_u64_u32 v[4:5], s[0:1], s3, v12, v[4:5]
	v_add_u32_e32 v5, 0x1e5, v68
	v_mad_u64_u32 v[12:13], s[0:1], s2, v5, 0
	v_add_co_u32_e64 v18, s[0:1], v39, v2
	v_mov_b32_e32 v7, v4
	v_mov_b32_e32 v4, v13
	v_addc_co_u32_e64 v19, s[0:1], v45, v3, s[0:1]
	v_mad_u64_u32 v[4:5], s[0:1], s3, v5, v[4:5]
	v_lshlrev_b64 v[2:3], 3, v[6:7]
	v_add_co_u32_e64 v6, s[0:1], v39, v2
	v_mov_b32_e32 v13, v4
	v_add_u32_e32 v4, 0x262, v68
	v_addc_co_u32_e64 v7, s[0:1], v45, v3, s[0:1]
	v_mad_u64_u32 v[20:21], s[0:1], s2, v4, 0
	v_lshlrev_b64 v[2:3], 3, v[12:13]
	v_add_co_u32_e64 v54, s[0:1], v39, v2
	v_mov_b32_e32 v2, v21
	v_addc_co_u32_e64 v55, s[0:1], v45, v3, s[0:1]
	v_mad_u64_u32 v[70:71], s[0:1], s3, v4, v[2:3]
	v_mad_u64_u32 v[71:72], s[0:1], s2, v38, 0
	global_load_dwordx2 v[2:3], v[8:9], off
	global_load_dwordx2 v[28:29], v[18:19], off
	;; [unrolled: 1-line block ×4, first 2 shown]
	v_mov_b32_e32 v21, v70
	v_mov_b32_e32 v8, v72
	v_mad_u64_u32 v[8:9], s[0:1], s3, v38, v[8:9]
	v_add_u32_e32 v9, 0x35c, v68
	v_mad_u64_u32 v[18:19], s[0:1], s2, v9, 0
	v_lshlrev_b64 v[6:7], 3, v[20:21]
	v_mov_b32_e32 v72, v8
	v_add_co_u32_e64 v54, s[0:1], v39, v6
	v_mov_b32_e32 v8, v19
	v_addc_co_u32_e64 v55, s[0:1], v45, v7, s[0:1]
	v_mad_u64_u32 v[8:9], s[0:1], s3, v9, v[8:9]
	v_add_u32_e32 v9, 0x3d9, v68
	v_mad_u64_u32 v[20:21], s[0:1], s2, v9, 0
	v_lshlrev_b64 v[6:7], 3, v[71:72]
	v_mov_b32_e32 v19, v8
	v_add_co_u32_e64 v70, s[0:1], v39, v6
	v_mov_b32_e32 v8, v21
	v_addc_co_u32_e64 v71, s[0:1], v45, v7, s[0:1]
	v_mad_u64_u32 v[8:9], s[0:1], s3, v9, v[8:9]
	v_lshlrev_b64 v[6:7], 3, v[18:19]
	v_add_co_u32_e64 v72, s[0:1], v39, v6
	v_mov_b32_e32 v21, v8
	v_add_u32_e32 v8, 0x456, v68
	v_addc_co_u32_e64 v73, s[0:1], v45, v7, s[0:1]
	v_mad_u64_u32 v[74:75], s[0:1], s2, v8, 0
	v_lshlrev_b64 v[6:7], 3, v[20:21]
	v_add_co_u32_e64 v76, s[0:1], v39, v6
	v_mov_b32_e32 v6, v75
	v_addc_co_u32_e64 v77, s[0:1], v45, v7, s[0:1]
	v_mad_u64_u32 v[78:79], s[0:1], s3, v8, v[6:7]
	v_mad_u64_u32 v[79:80], s[0:1], s2, v44, 0
	global_load_dwordx2 v[18:19], v[54:55], off
	global_load_dwordx2 v[6:7], v[70:71], off
	;; [unrolled: 1-line block ×4, first 2 shown]
	v_mov_b32_e32 v75, v78
	v_mov_b32_e32 v38, v80
	v_mad_u64_u32 v[70:71], s[0:1], s3, v44, v[38:39]
	v_or_b32_e32 v44, 0x550, v68
	v_mad_u64_u32 v[71:72], s[0:1], s2, v44, 0
	v_lshlrev_b64 v[54:55], 3, v[74:75]
	v_mov_b32_e32 v80, v70
	v_add_co_u32_e64 v73, s[0:1], v39, v54
	v_mov_b32_e32 v38, v72
	v_addc_co_u32_e64 v74, s[0:1], v45, v55, s[0:1]
	v_mad_u64_u32 v[75:76], s[0:1], s3, v44, v[38:39]
	v_lshlrev_b64 v[54:55], 3, v[79:80]
	v_add_co_u32_e64 v76, s[0:1], v39, v54
	v_mov_b32_e32 v72, v75
	v_addc_co_u32_e64 v77, s[0:1], v45, v55, s[0:1]
	v_lshlrev_b64 v[54:55], 3, v[71:72]
	v_add_co_u32_e64 v70, s[0:1], v39, v54
	v_addc_co_u32_e64 v71, s[0:1], v45, v55, s[0:1]
	global_load_dwordx2 v[38:39], v[73:74], off
	global_load_dwordx2 v[44:45], v[76:77], off
	;; [unrolled: 1-line block ×3, first 2 shown]
.LBB0_14:
	s_or_b64 exec, exec, s[6:7]
	v_mov_b32_e32 v70, v69
.LBB0_15:
	s_or_b64 exec, exec, s[4:5]
	s_waitcnt vmcnt(11)
	v_sub_f32_e32 v73, v61, v67
	v_mul_f32_e32 v74, 0xbf0a6770, v73
	v_mul_f32_e32 v76, 0xbf68dda4, v73
	;; [unrolled: 1-line block ×5, first 2 shown]
	v_add_f32_e32 v72, v66, v60
	s_mov_b32 s10, 0x3f575c64
	v_mov_b32_e32 v75, v74
	s_mov_b32 s6, 0x3ed4b147
	v_mov_b32_e32 v77, v76
	;; [unrolled: 2-line block ×5, first 2 shown]
	v_fmac_f32_e32 v75, 0x3f575c64, v72
	v_fma_f32 v74, v72, s10, -v74
	v_fmac_f32_e32 v77, 0x3ed4b147, v72
	v_fma_f32 v76, v72, s6, -v76
	;; [unrolled: 2-line block ×5, first 2 shown]
	v_sub_f32_e32 v73, v57, v65
	v_add_f32_e32 v71, v52, v60
	v_add_f32_e32 v75, v75, v52
	;; [unrolled: 1-line block ×12, first 2 shown]
	v_mul_f32_e32 v83, 0xbf68dda4, v73
	v_mov_b32_e32 v84, v83
	v_fma_f32 v83, v72, s6, -v83
	v_fmac_f32_e32 v84, 0x3ed4b147, v72
	v_add_f32_e32 v74, v74, v83
	v_mul_f32_e32 v83, 0xbf4178ce, v73
	v_add_f32_e32 v75, v75, v84
	v_mov_b32_e32 v84, v83
	v_fma_f32 v83, v72, s11, -v83
	v_fmac_f32_e32 v84, 0xbf27a4f4, v72
	v_add_f32_e32 v76, v76, v83
	v_mul_f32_e32 v83, 0x3e903f40, v73
	v_add_f32_e32 v77, v77, v84
	v_mov_b32_e32 v84, v83
	v_fma_f32 v83, v72, s14, -v83
	v_fmac_f32_e32 v84, 0xbf75a155, v72
	v_add_f32_e32 v78, v78, v83
	v_mul_f32_e32 v83, 0x3f7d64f0, v73
	v_add_f32_e32 v79, v79, v84
	v_mov_b32_e32 v84, v83
	v_fma_f32 v83, v72, s7, -v83
	v_mul_f32_e32 v73, 0x3f0a6770, v73
	v_add_f32_e32 v80, v80, v83
	v_mov_b32_e32 v83, v73
	v_fmac_f32_e32 v84, 0xbe11bafb, v72
	v_fmac_f32_e32 v83, 0x3f575c64, v72
	v_fma_f32 v72, v72, s10, -v73
	v_sub_f32_e32 v73, v47, v63
	v_add_f32_e32 v82, v82, v83
	v_add_f32_e32 v52, v52, v72
	v_add_f32_e32 v72, v62, v46
	v_mul_f32_e32 v83, 0xbf7d64f0, v73
	v_add_f32_e32 v81, v81, v84
	v_mov_b32_e32 v84, v83
	v_fma_f32 v83, v72, s7, -v83
	v_fmac_f32_e32 v84, 0xbe11bafb, v72
	v_add_f32_e32 v74, v74, v83
	v_mul_f32_e32 v83, 0x3e903f40, v73
	v_add_f32_e32 v75, v75, v84
	v_mov_b32_e32 v84, v83
	v_fma_f32 v83, v72, s14, -v83
	v_fmac_f32_e32 v84, 0xbf75a155, v72
	v_add_f32_e32 v76, v76, v83
	v_mul_f32_e32 v83, 0x3f68dda4, v73
	v_add_f32_e32 v77, v77, v84
	v_mov_b32_e32 v84, v83
	v_fma_f32 v83, v72, s6, -v83
	v_fmac_f32_e32 v84, 0x3ed4b147, v72
	v_add_f32_e32 v78, v78, v83
	v_mul_f32_e32 v83, 0xbf0a6770, v73
	v_add_f32_e32 v79, v79, v84
	v_mov_b32_e32 v84, v83
	v_fma_f32 v83, v72, s10, -v83
	v_mul_f32_e32 v73, 0xbf4178ce, v73
	v_add_f32_e32 v80, v80, v83
	v_mov_b32_e32 v83, v73
	v_fmac_f32_e32 v84, 0x3f575c64, v72
	v_fmac_f32_e32 v83, 0xbf27a4f4, v72
	v_fma_f32 v72, v72, s11, -v73
	v_sub_f32_e32 v73, v41, v59
	v_add_f32_e32 v82, v82, v83
	v_add_f32_e32 v52, v52, v72
	v_add_f32_e32 v72, v58, v40
	v_mul_f32_e32 v83, 0xbf4178ce, v73
	v_add_f32_e32 v81, v81, v84
	;; [unrolled: 32-line block ×3, first 2 shown]
	v_mov_b32_e32 v84, v83
	v_fma_f32 v83, v72, s14, -v83
	v_fmac_f32_e32 v84, 0xbf75a155, v72
	v_add_f32_e32 v74, v74, v83
	v_mul_f32_e32 v83, 0x3f0a6770, v73
	v_add_f32_e32 v75, v75, v84
	v_mov_b32_e32 v84, v83
	v_fma_f32 v83, v72, s10, -v83
	v_fmac_f32_e32 v84, 0x3f575c64, v72
	v_add_f32_e32 v76, v76, v83
	v_mul_f32_e32 v83, 0xbf4178ce, v73
	v_add_f32_e32 v77, v77, v84
	v_mov_b32_e32 v84, v83
	v_fma_f32 v83, v72, s11, -v83
	v_fmac_f32_e32 v84, 0xbf27a4f4, v72
	v_add_f32_e32 v78, v78, v83
	v_mul_f32_e32 v83, 0x3f68dda4, v73
	v_add_f32_e32 v79, v79, v84
	v_mov_b32_e32 v84, v83
	v_fma_f32 v83, v72, s6, -v83
	v_mul_f32_e32 v73, 0xbf7d64f0, v73
	v_add_f32_e32 v80, v80, v83
	v_mov_b32_e32 v83, v73
	v_fmac_f32_e32 v84, 0x3ed4b147, v72
	v_fmac_f32_e32 v83, 0xbe11bafb, v72
	v_fma_f32 v72, v72, s7, -v73
	v_add_f32_e32 v52, v52, v72
	s_waitcnt vmcnt(9)
	v_add_f32_e32 v72, v16, v30
	s_waitcnt vmcnt(8)
	;; [unrolled: 2-line block ×7, first 2 shown]
	v_add_f32_e32 v72, v26, v72
	v_add_f32_e32 v82, v82, v83
	s_waitcnt vmcnt(2)
	v_add_f32_e32 v72, v34, v72
	s_waitcnt vmcnt(0)
	v_sub_f32_e32 v83, v31, v49
	v_add_f32_e32 v81, v81, v84
	v_add_f32_e32 v72, v42, v72
	v_mul_f32_e32 v84, 0xbf0a6770, v83
	v_mul_f32_e32 v86, 0xbf68dda4, v83
	;; [unrolled: 1-line block ×5, first 2 shown]
	v_add_f32_e32 v73, v48, v72
	v_add_f32_e32 v72, v48, v30
	v_mov_b32_e32 v85, v84
	v_mov_b32_e32 v87, v86
	;; [unrolled: 1-line block ×5, first 2 shown]
	v_fmac_f32_e32 v85, 0x3f575c64, v72
	v_fma_f32 v84, v72, s10, -v84
	v_fmac_f32_e32 v87, 0x3ed4b147, v72
	v_fma_f32 v86, v72, s6, -v86
	;; [unrolled: 2-line block ×5, first 2 shown]
	v_sub_f32_e32 v83, v33, v43
	v_add_f32_e32 v85, v85, v16
	v_add_f32_e32 v84, v84, v16
	;; [unrolled: 1-line block ×11, first 2 shown]
	v_mul_f32_e32 v93, 0xbf68dda4, v83
	v_mov_b32_e32 v94, v93
	v_fma_f32 v93, v72, s6, -v93
	v_fmac_f32_e32 v94, 0x3ed4b147, v72
	v_add_f32_e32 v84, v84, v93
	v_mul_f32_e32 v93, 0xbf4178ce, v83
	v_add_f32_e32 v85, v85, v94
	v_mov_b32_e32 v94, v93
	v_fma_f32 v93, v72, s11, -v93
	v_fmac_f32_e32 v94, 0xbf27a4f4, v72
	v_add_f32_e32 v86, v86, v93
	v_mul_f32_e32 v93, 0x3e903f40, v83
	v_add_f32_e32 v87, v87, v94
	v_mov_b32_e32 v94, v93
	v_fma_f32 v93, v72, s14, -v93
	v_fmac_f32_e32 v94, 0xbf75a155, v72
	v_add_f32_e32 v88, v88, v93
	v_mul_f32_e32 v93, 0x3f7d64f0, v83
	v_add_f32_e32 v89, v89, v94
	v_mov_b32_e32 v94, v93
	v_fma_f32 v93, v72, s7, -v93
	v_mul_f32_e32 v83, 0x3f0a6770, v83
	v_add_f32_e32 v90, v90, v93
	v_mov_b32_e32 v93, v83
	v_fmac_f32_e32 v94, 0xbe11bafb, v72
	v_fmac_f32_e32 v93, 0x3f575c64, v72
	v_fma_f32 v72, v72, s10, -v83
	v_sub_f32_e32 v83, v25, v35
	v_add_f32_e32 v92, v92, v93
	v_add_f32_e32 v16, v16, v72
	v_add_f32_e32 v72, v34, v24
	v_mul_f32_e32 v93, 0xbf7d64f0, v83
	v_add_f32_e32 v91, v91, v94
	v_mov_b32_e32 v94, v93
	v_fma_f32 v93, v72, s7, -v93
	v_fmac_f32_e32 v94, 0xbe11bafb, v72
	v_add_f32_e32 v84, v84, v93
	v_mul_f32_e32 v93, 0x3e903f40, v83
	v_add_f32_e32 v85, v85, v94
	v_mov_b32_e32 v94, v93
	v_fma_f32 v93, v72, s14, -v93
	v_fmac_f32_e32 v94, 0xbf75a155, v72
	v_add_f32_e32 v86, v86, v93
	v_mul_f32_e32 v93, 0x3f68dda4, v83
	v_add_f32_e32 v87, v87, v94
	v_mov_b32_e32 v94, v93
	v_fma_f32 v93, v72, s6, -v93
	v_fmac_f32_e32 v94, 0x3ed4b147, v72
	v_add_f32_e32 v88, v88, v93
	v_mul_f32_e32 v93, 0xbf0a6770, v83
	v_add_f32_e32 v89, v89, v94
	v_mov_b32_e32 v94, v93
	v_fma_f32 v93, v72, s10, -v93
	v_mul_f32_e32 v83, 0xbf4178ce, v83
	v_add_f32_e32 v90, v90, v93
	v_mov_b32_e32 v93, v83
	v_fmac_f32_e32 v94, 0x3f575c64, v72
	v_fmac_f32_e32 v93, 0xbf27a4f4, v72
	v_fma_f32 v72, v72, s11, -v83
	v_sub_f32_e32 v83, v23, v27
	v_add_f32_e32 v92, v92, v93
	v_add_f32_e32 v16, v16, v72
	v_add_f32_e32 v72, v26, v22
	v_mul_f32_e32 v93, 0xbf4178ce, v83
	v_add_f32_e32 v91, v91, v94
	;; [unrolled: 32-line block ×3, first 2 shown]
	v_mov_b32_e32 v94, v93
	v_fma_f32 v93, v72, s14, -v93
	v_add_f32_e32 v71, v71, v56
	v_fmac_f32_e32 v94, 0xbf75a155, v72
	v_add_f32_e32 v84, v84, v93
	v_mul_f32_e32 v93, 0x3f0a6770, v83
	v_add_f32_e32 v71, v71, v46
	v_add_f32_e32 v85, v85, v94
	v_mov_b32_e32 v94, v93
	v_fma_f32 v93, v72, s10, -v93
	v_add_f32_e32 v71, v71, v40
	v_fmac_f32_e32 v94, 0x3f575c64, v72
	v_add_f32_e32 v86, v86, v93
	v_mul_f32_e32 v93, 0xbf4178ce, v83
	v_add_f32_e32 v71, v71, v36
	v_add_f32_e32 v87, v87, v94
	;; [unrolled: 8-line block ×3, first 2 shown]
	v_mov_b32_e32 v94, v93
	v_fma_f32 v93, v72, s6, -v93
	v_mul_f32_e32 v83, 0xbf7d64f0, v83
	v_add_f32_e32 v71, v62, v71
	v_add_f32_e32 v90, v90, v93
	v_mov_b32_e32 v93, v83
	v_add_f32_e32 v71, v64, v71
	v_fmac_f32_e32 v94, 0x3ed4b147, v72
	v_fmac_f32_e32 v93, 0xbe11bafb, v72
	v_fma_f32 v72, v72, s7, -v83
	v_add_f32_e32 v71, v66, v71
	v_add_f32_e32 v16, v16, v72
	v_mad_u32_u24 v72, v68, 44, 0
	ds_write2_b32 v72, v71, v75 offset1:1
	ds_write2_b32 v72, v77, v79 offset0:2 offset1:3
	ds_write2_b32 v72, v81, v82 offset0:4 offset1:5
	;; [unrolled: 1-line block ×4, first 2 shown]
	ds_write_b32 v72, v74 offset:40
	v_mad_i32_i24 v71, v70, 44, 0
	v_cmp_gt_u32_e64 s[0:1], 15, v68
	v_add_f32_e32 v91, v91, v94
	v_add_f32_e32 v92, v92, v93
	ds_write2_b32 v71, v73, v85 offset1:1
	ds_write2_b32 v71, v87, v89 offset0:2 offset1:3
	ds_write2_b32 v71, v91, v92 offset0:4 offset1:5
	;; [unrolled: 1-line block ×4, first 2 shown]
	ds_write_b32 v71, v84 offset:40
	s_and_saveexec_b64 s[4:5], s[0:1]
	s_cbranch_execz .LBB0_17
; %bb.16:
	v_add_f32_e32 v16, v28, v54
	v_mul_f32_e32 v52, 0xbf75a155, v16
	v_add_f32_e32 v75, v12, v44
	v_sub_f32_e32 v73, v29, v55
	v_mov_b32_e32 v74, v52
	v_mul_f32_e32 v76, 0x3f575c64, v75
	v_fmac_f32_e32 v74, 0x3e903f40, v73
	v_sub_f32_e32 v77, v13, v45
	v_mov_b32_e32 v78, v76
	v_add_f32_e32 v74, v2, v74
	v_fmac_f32_e32 v78, 0xbf0a6770, v77
	v_add_f32_e32 v74, v74, v78
	v_add_f32_e32 v78, v4, v38
	v_mul_f32_e32 v79, 0xbf27a4f4, v78
	v_sub_f32_e32 v80, v5, v39
	v_mov_b32_e32 v81, v79
	v_fmac_f32_e32 v81, 0x3f4178ce, v80
	v_add_f32_e32 v74, v74, v81
	v_add_f32_e32 v81, v18, v20
	v_mul_f32_e32 v82, 0x3ed4b147, v81
	v_sub_f32_e32 v83, v19, v21
	v_mov_b32_e32 v84, v82
	v_fmac_f32_e32 v52, 0xbe903f40, v73
	v_fmac_f32_e32 v84, 0xbf68dda4, v83
	v_add_f32_e32 v52, v2, v52
	v_fmac_f32_e32 v76, 0x3f0a6770, v77
	v_add_f32_e32 v74, v74, v84
	v_add_f32_e32 v84, v6, v8
	;; [unrolled: 1-line block ×3, first 2 shown]
	v_fmac_f32_e32 v79, 0xbf4178ce, v80
	v_mul_f32_e32 v85, 0xbe11bafb, v84
	v_sub_f32_e32 v86, v7, v9
	v_add_f32_e32 v52, v52, v79
	v_fmac_f32_e32 v82, 0x3f68dda4, v83
	v_mul_f32_e32 v76, 0xbf27a4f4, v16
	v_mov_b32_e32 v87, v85
	v_add_f32_e32 v52, v52, v82
	v_fmac_f32_e32 v85, 0xbf7d64f0, v86
	v_mov_b32_e32 v79, v76
	v_mul_f32_e32 v82, 0xbe11bafb, v75
	v_add_f32_e32 v52, v52, v85
	v_fmac_f32_e32 v79, 0x3f4178ce, v73
	v_mov_b32_e32 v85, v82
	v_add_f32_e32 v79, v2, v79
	v_fmac_f32_e32 v85, 0xbf7d64f0, v77
	v_fmac_f32_e32 v87, 0x3f7d64f0, v86
	v_add_f32_e32 v79, v79, v85
	v_mul_f32_e32 v85, 0x3f575c64, v78
	v_add_f32_e32 v74, v74, v87
	v_mov_b32_e32 v87, v85
	v_fmac_f32_e32 v87, 0x3f0a6770, v80
	v_add_f32_e32 v79, v79, v87
	v_mul_f32_e32 v87, 0xbf75a155, v81
	v_fmac_f32_e32 v76, 0xbf4178ce, v73
	v_mov_b32_e32 v88, v87
	v_add_f32_e32 v76, v2, v76
	v_fmac_f32_e32 v82, 0x3f7d64f0, v77
	v_fmac_f32_e32 v88, 0x3e903f40, v83
	v_add_f32_e32 v76, v76, v82
	v_fmac_f32_e32 v85, 0xbf0a6770, v80
	v_add_f32_e32 v79, v79, v88
	v_mul_f32_e32 v88, 0x3ed4b147, v84
	v_add_f32_e32 v76, v76, v85
	v_fmac_f32_e32 v87, 0xbe903f40, v83
	v_mul_f32_e32 v82, 0xbe11bafb, v16
	v_mov_b32_e32 v89, v88
	v_add_f32_e32 v76, v76, v87
	v_fmac_f32_e32 v88, 0x3f68dda4, v86
	v_mov_b32_e32 v85, v82
	v_mul_f32_e32 v87, 0xbf75a155, v75
	v_add_f32_e32 v76, v76, v88
	v_fmac_f32_e32 v85, 0x3f7d64f0, v73
	v_mov_b32_e32 v88, v87
	v_add_f32_e32 v85, v2, v85
	v_fmac_f32_e32 v88, 0xbe903f40, v77
	v_fmac_f32_e32 v89, 0xbf68dda4, v86
	v_add_f32_e32 v85, v85, v88
	v_mul_f32_e32 v88, 0x3ed4b147, v78
	v_add_f32_e32 v79, v79, v89
	v_mov_b32_e32 v89, v88
	v_fmac_f32_e32 v89, 0xbf68dda4, v80
	v_add_f32_e32 v85, v85, v89
	v_mul_f32_e32 v89, 0x3f575c64, v81
	v_fmac_f32_e32 v82, 0xbf7d64f0, v73
	v_mov_b32_e32 v90, v89
	v_add_f32_e32 v82, v2, v82
	v_fmac_f32_e32 v87, 0x3e903f40, v77
	v_fmac_f32_e32 v90, 0x3f0a6770, v83
	v_add_f32_e32 v82, v82, v87
	v_fmac_f32_e32 v88, 0x3f68dda4, v80
	v_add_f32_e32 v85, v85, v90
	v_mul_f32_e32 v90, 0xbf27a4f4, v84
	v_add_f32_e32 v82, v82, v88
	v_fmac_f32_e32 v89, 0xbf0a6770, v83
	v_mul_f32_e32 v87, 0x3ed4b147, v16
	v_mov_b32_e32 v91, v90
	v_add_f32_e32 v82, v82, v89
	v_fmac_f32_e32 v90, 0xbf4178ce, v86
	v_mov_b32_e32 v88, v87
	v_mul_f32_e32 v89, 0xbf27a4f4, v75
	v_fmac_f32_e32 v87, 0xbf68dda4, v73
	v_add_f32_e32 v82, v82, v90
	v_mov_b32_e32 v90, v89
	v_add_f32_e32 v87, v2, v87
	v_fmac_f32_e32 v89, 0xbf4178ce, v77
	v_mul_f32_e32 v16, 0x3f575c64, v16
	v_fmac_f32_e32 v88, 0x3f68dda4, v73
	v_add_f32_e32 v87, v87, v89
	v_mov_b32_e32 v89, v16
	v_add_f32_e32 v88, v2, v88
	v_fmac_f32_e32 v90, 0x3f4178ce, v77
	v_fmac_f32_e32 v89, 0x3f0a6770, v73
	;; [unrolled: 1-line block ×4, first 2 shown]
	v_add_f32_e32 v88, v88, v90
	v_mul_f32_e32 v90, 0xbf75a155, v78
	v_add_f32_e32 v89, v2, v89
	v_add_f32_e32 v16, v2, v16
	;; [unrolled: 1-line block ×4, first 2 shown]
	v_mov_b32_e32 v91, v90
	v_fmac_f32_e32 v90, 0x3e903f40, v80
	v_mul_f32_e32 v75, 0x3ed4b147, v75
	v_add_f32_e32 v2, v2, v12
	v_add_f32_e32 v87, v87, v90
	v_mov_b32_e32 v90, v75
	v_add_f32_e32 v2, v2, v4
	v_fmac_f32_e32 v91, 0xbe903f40, v80
	v_fmac_f32_e32 v90, 0x3f68dda4, v77
	v_mul_f32_e32 v78, 0xbe11bafb, v78
	v_add_f32_e32 v2, v2, v18
	v_add_f32_e32 v88, v88, v91
	v_mul_f32_e32 v91, 0xbe11bafb, v81
	v_add_f32_e32 v89, v89, v90
	v_mov_b32_e32 v90, v78
	v_add_f32_e32 v2, v2, v6
	v_mov_b32_e32 v92, v91
	v_fmac_f32_e32 v90, 0x3f7d64f0, v80
	v_mul_f32_e32 v81, 0xbf27a4f4, v81
	v_fmac_f32_e32 v75, 0xbf68dda4, v77
	v_add_f32_e32 v2, v2, v8
	v_fmac_f32_e32 v92, 0xbf7d64f0, v83
	v_add_f32_e32 v89, v89, v90
	v_mov_b32_e32 v90, v81
	v_add_f32_e32 v16, v16, v75
	v_fmac_f32_e32 v78, 0xbf7d64f0, v80
	v_add_f32_e32 v2, v20, v2
	v_add_f32_e32 v88, v88, v92
	v_mul_f32_e32 v92, 0x3f575c64, v84
	v_fmac_f32_e32 v90, 0x3f4178ce, v83
	v_mul_f32_e32 v84, 0xbf75a155, v84
	v_add_f32_e32 v16, v16, v78
	v_fmac_f32_e32 v81, 0xbf4178ce, v83
	v_add_f32_e32 v2, v38, v2
	v_fmac_f32_e32 v91, 0x3f7d64f0, v83
	v_add_f32_e32 v89, v89, v90
	v_mov_b32_e32 v90, v84
	v_add_f32_e32 v16, v16, v81
	v_fmac_f32_e32 v84, 0xbe903f40, v86
	v_add_f32_e32 v2, v44, v2
	v_mov_b32_e32 v93, v92
	v_add_f32_e32 v87, v87, v91
	v_fmac_f32_e32 v92, 0x3f0a6770, v86
	v_add_f32_e32 v16, v16, v84
	v_add_f32_e32 v2, v54, v2
	v_add_u32_e32 v73, 0x12e8, v72
	v_add_f32_e32 v87, v87, v92
	ds_write2_b32 v73, v2, v16 offset1:1
	v_add_u32_e32 v2, 0x12f0, v72
	ds_write2_b32 v2, v87, v82 offset1:1
	v_add_u32_e32 v2, 0x12f8, v72
	v_fmac_f32_e32 v93, 0xbf0a6770, v86
	ds_write2_b32 v2, v76, v52 offset1:1
	v_add_u32_e32 v2, 0x1300, v72
	v_add_f32_e32 v88, v88, v93
	v_fmac_f32_e32 v90, 0x3e903f40, v86
	ds_write2_b32 v2, v74, v79 offset1:1
	v_add_u32_e32 v2, 0x1308, v72
	v_add_f32_e32 v89, v89, v90
	ds_write2_b32 v2, v85, v88 offset1:1
	ds_write_b32 v72, v89 offset:4880
.LBB0_17:
	s_or_b64 exec, exec, s[4:5]
	v_add_f32_e32 v2, v53, v61
	v_add_f32_e32 v2, v2, v57
	;; [unrolled: 1-line block ×8, first 2 shown]
	v_sub_f32_e32 v52, v60, v66
	v_add_f32_e32 v2, v65, v2
	v_add_f32_e32 v16, v67, v61
	v_mul_f32_e32 v60, 0xbf0a6770, v52
	v_mul_f32_e32 v66, 0xbf68dda4, v52
	;; [unrolled: 1-line block ×5, first 2 shown]
	v_add_f32_e32 v2, v67, v2
	v_fma_f32 v61, v16, s10, -v60
	v_fmac_f32_e32 v60, 0x3f575c64, v16
	v_fma_f32 v67, v16, s6, -v66
	v_fmac_f32_e32 v66, 0x3ed4b147, v16
	v_fma_f32 v74, v16, s7, -v73
	v_fmac_f32_e32 v73, 0xbe11bafb, v16
	v_fma_f32 v76, v16, s11, -v75
	v_fmac_f32_e32 v75, 0xbf27a4f4, v16
	v_fma_f32 v77, v16, s14, -v52
	v_fmac_f32_e32 v52, 0xbf75a155, v16
	v_add_f32_e32 v61, v61, v53
	v_add_f32_e32 v60, v60, v53
	;; [unrolled: 1-line block ×10, first 2 shown]
	v_sub_f32_e32 v53, v56, v64
	v_add_f32_e32 v52, v65, v57
	v_mul_f32_e32 v56, 0xbf68dda4, v53
	v_fma_f32 v57, v52, s6, -v56
	v_fmac_f32_e32 v56, 0x3ed4b147, v52
	v_add_f32_e32 v56, v60, v56
	v_mul_f32_e32 v60, 0xbf4178ce, v53
	v_add_f32_e32 v57, v61, v57
	v_fma_f32 v61, v52, s11, -v60
	v_fmac_f32_e32 v60, 0xbf27a4f4, v52
	v_mul_f32_e32 v64, 0x3e903f40, v53
	v_add_f32_e32 v60, v66, v60
	v_fma_f32 v65, v52, s14, -v64
	v_fmac_f32_e32 v64, 0xbf75a155, v52
	v_mul_f32_e32 v66, 0x3f7d64f0, v53
	v_mul_f32_e32 v53, 0x3f0a6770, v53
	v_sub_f32_e32 v46, v46, v62
	v_add_f32_e32 v61, v67, v61
	v_add_f32_e32 v64, v73, v64
	v_fma_f32 v67, v52, s7, -v66
	v_fmac_f32_e32 v66, 0xbe11bafb, v52
	v_fma_f32 v73, v52, s10, -v53
	v_fmac_f32_e32 v53, 0x3f575c64, v52
	v_add_f32_e32 v47, v63, v47
	v_mul_f32_e32 v52, 0xbf7d64f0, v46
	v_add_f32_e32 v16, v16, v53
	v_fma_f32 v53, v47, s7, -v52
	v_fmac_f32_e32 v52, 0xbe11bafb, v47
	v_add_f32_e32 v52, v56, v52
	v_mul_f32_e32 v56, 0x3e903f40, v46
	v_add_f32_e32 v53, v57, v53
	;; [unrolled: 5-line block ×3, first 2 shown]
	v_fma_f32 v61, v47, s6, -v60
	v_fmac_f32_e32 v60, 0x3ed4b147, v47
	v_mul_f32_e32 v62, 0xbf0a6770, v46
	v_mul_f32_e32 v46, 0xbf4178ce, v46
	v_add_f32_e32 v60, v64, v60
	v_fma_f32 v64, v47, s11, -v46
	v_fmac_f32_e32 v46, 0xbf27a4f4, v47
	v_sub_f32_e32 v40, v40, v58
	v_add_f32_e32 v16, v16, v46
	v_add_f32_e32 v41, v59, v41
	v_mul_f32_e32 v46, 0xbf4178ce, v40
	v_fma_f32 v63, v47, s10, -v62
	v_fmac_f32_e32 v62, 0x3f575c64, v47
	v_fma_f32 v47, v41, s11, -v46
	v_fmac_f32_e32 v46, 0xbf27a4f4, v41
	v_add_f32_e32 v46, v52, v46
	v_mul_f32_e32 v52, 0x3f7d64f0, v40
	v_add_f32_e32 v47, v53, v47
	v_fma_f32 v53, v41, s7, -v52
	v_fmac_f32_e32 v52, 0xbe11bafb, v41
	v_add_f32_e32 v52, v56, v52
	v_mul_f32_e32 v56, 0xbf0a6770, v40
	v_add_f32_e32 v53, v57, v53
	v_fma_f32 v57, v41, s10, -v56
	v_fmac_f32_e32 v56, 0x3f575c64, v41
	v_mul_f32_e32 v58, 0xbe903f40, v40
	v_mul_f32_e32 v40, 0x3f68dda4, v40
	v_add_f32_e32 v56, v60, v56
	v_fma_f32 v60, v41, s6, -v40
	v_fmac_f32_e32 v40, 0x3ed4b147, v41
	v_sub_f32_e32 v36, v36, v50
	v_add_f32_e32 v66, v75, v66
	v_add_f32_e32 v16, v16, v40
	v_add_f32_e32 v37, v51, v37
	v_mul_f32_e32 v40, 0xbe903f40, v36
	v_add_f32_e32 v65, v74, v65
	v_add_f32_e32 v62, v66, v62
	v_fma_f32 v59, v41, s14, -v58
	v_fmac_f32_e32 v58, 0xbf75a155, v41
	v_fma_f32 v41, v37, s14, -v40
	v_fmac_f32_e32 v40, 0xbf75a155, v37
	v_add_f32_e32 v67, v76, v67
	v_add_f32_e32 v61, v65, v61
	;; [unrolled: 1-line block ×4, first 2 shown]
	v_mul_f32_e32 v40, 0x3f0a6770, v36
	v_add_f32_e32 v63, v67, v63
	v_add_f32_e32 v57, v61, v57
	;; [unrolled: 1-line block ×3, first 2 shown]
	v_fma_f32 v41, v37, s10, -v40
	v_fmac_f32_e32 v40, 0x3f575c64, v37
	v_add_f32_e32 v59, v63, v59
	v_add_f32_e32 v63, v52, v40
	v_mul_f32_e32 v40, 0xbf4178ce, v36
	v_add_f32_e32 v73, v77, v73
	v_add_f32_e32 v53, v53, v41
	v_fma_f32 v41, v37, s11, -v40
	v_fmac_f32_e32 v40, 0xbf27a4f4, v37
	v_add_f32_e32 v64, v73, v64
	v_add_f32_e32 v65, v56, v40
	v_mul_f32_e32 v40, 0x3f68dda4, v36
	v_add_f32_e32 v60, v64, v60
	v_add_f32_e32 v64, v57, v41
	v_fma_f32 v41, v37, s6, -v40
	v_fmac_f32_e32 v40, 0x3ed4b147, v37
	v_mul_f32_e32 v36, 0xbf7d64f0, v36
	v_add_f32_e32 v67, v58, v40
	v_fma_f32 v40, v37, s7, -v36
	v_fmac_f32_e32 v36, 0xbe11bafb, v37
	v_add_f32_e32 v73, v16, v36
	v_add_f32_e32 v16, v17, v31
	v_add_f32_e32 v16, v16, v33
	v_add_f32_e32 v16, v16, v25
	v_add_f32_e32 v16, v16, v23
	v_add_f32_e32 v16, v16, v11
	v_add_f32_e32 v16, v16, v15
	v_add_f32_e32 v16, v27, v16
	v_add_f32_e32 v16, v35, v16
	v_add_f32_e32 v16, v43, v16
	v_sub_f32_e32 v30, v30, v48
	v_add_f32_e32 v66, v59, v41
	v_add_f32_e32 v74, v49, v16
	;; [unrolled: 1-line block ×3, first 2 shown]
	v_mul_f32_e32 v31, 0xbf0a6770, v30
	v_mul_f32_e32 v37, 0xbf68dda4, v30
	;; [unrolled: 1-line block ×5, first 2 shown]
	v_fma_f32 v49, v16, s14, -v30
	v_fmac_f32_e32 v30, 0xbf75a155, v16
	v_add_f32_e32 v60, v60, v40
	v_fma_f32 v36, v16, s10, -v31
	v_fmac_f32_e32 v31, 0x3f575c64, v16
	v_fma_f32 v40, v16, s6, -v37
	v_fmac_f32_e32 v37, 0x3ed4b147, v16
	;; [unrolled: 2-line block ×4, first 2 shown]
	v_add_f32_e32 v16, v30, v17
	v_sub_f32_e32 v30, v32, v42
	v_add_f32_e32 v36, v36, v17
	v_add_f32_e32 v31, v31, v17
	;; [unrolled: 1-line block ×10, first 2 shown]
	v_mul_f32_e32 v32, 0xbf68dda4, v30
	v_fma_f32 v33, v17, s6, -v32
	v_fmac_f32_e32 v32, 0x3ed4b147, v17
	v_add_f32_e32 v31, v31, v32
	v_mul_f32_e32 v32, 0xbf4178ce, v30
	v_add_f32_e32 v33, v36, v33
	v_fma_f32 v36, v17, s11, -v32
	v_fmac_f32_e32 v32, 0xbf27a4f4, v17
	v_add_f32_e32 v32, v37, v32
	v_mul_f32_e32 v37, 0x3e903f40, v30
	v_add_f32_e32 v36, v40, v36
	v_fma_f32 v40, v17, s14, -v37
	v_fmac_f32_e32 v37, 0xbf75a155, v17
	v_add_f32_e32 v37, v41, v37
	v_mul_f32_e32 v41, 0x3f7d64f0, v30
	v_mul_f32_e32 v30, 0x3f0a6770, v30
	v_sub_f32_e32 v24, v24, v34
	v_fma_f32 v42, v17, s7, -v41
	v_fmac_f32_e32 v41, 0xbe11bafb, v17
	v_fma_f32 v43, v17, s10, -v30
	v_fmac_f32_e32 v30, 0x3f575c64, v17
	v_add_f32_e32 v17, v35, v25
	v_mul_f32_e32 v25, 0xbf7d64f0, v24
	v_add_f32_e32 v16, v16, v30
	v_fma_f32 v30, v17, s7, -v25
	v_fmac_f32_e32 v25, 0xbe11bafb, v17
	v_add_f32_e32 v25, v31, v25
	v_mul_f32_e32 v31, 0x3e903f40, v24
	v_add_f32_e32 v30, v33, v30
	v_fma_f32 v33, v17, s14, -v31
	v_fmac_f32_e32 v31, 0xbf75a155, v17
	v_add_f32_e32 v31, v32, v31
	v_mul_f32_e32 v32, 0x3f68dda4, v24
	v_fma_f32 v34, v17, s6, -v32
	v_fmac_f32_e32 v32, 0x3ed4b147, v17
	v_mul_f32_e32 v35, 0xbf0a6770, v24
	v_mul_f32_e32 v24, 0xbf4178ce, v24
	v_sub_f32_e32 v22, v22, v26
	v_add_f32_e32 v33, v36, v33
	v_add_f32_e32 v32, v37, v32
	v_fma_f32 v36, v17, s10, -v35
	v_fmac_f32_e32 v35, 0x3f575c64, v17
	v_fma_f32 v37, v17, s11, -v24
	v_fmac_f32_e32 v24, 0xbf27a4f4, v17
	v_add_f32_e32 v17, v27, v23
	v_mul_f32_e32 v23, 0xbf4178ce, v22
	v_sub_f32_e32 v10, v10, v14
	v_add_f32_e32 v16, v16, v24
	v_fma_f32 v24, v17, s11, -v23
	v_fmac_f32_e32 v23, 0xbf27a4f4, v17
	v_add_f32_e32 v11, v15, v11
	v_mul_f32_e32 v14, 0xbe903f40, v10
	v_add_f32_e32 v23, v25, v23
	v_mul_f32_e32 v25, 0x3f7d64f0, v22
	v_fma_f32 v15, v11, s14, -v14
	v_fmac_f32_e32 v14, 0xbf75a155, v11
	v_add_f32_e32 v24, v30, v24
	v_fma_f32 v26, v17, s7, -v25
	v_fmac_f32_e32 v25, 0xbe11bafb, v17
	v_add_f32_e32 v76, v23, v14
	v_mul_f32_e32 v14, 0x3f0a6770, v10
	v_add_f32_e32 v25, v31, v25
	v_mul_f32_e32 v27, 0xbf0a6770, v22
	v_add_f32_e32 v75, v24, v15
	v_fma_f32 v15, v11, s10, -v14
	v_fmac_f32_e32 v14, 0x3f575c64, v11
	v_add_f32_e32 v40, v46, v40
	v_add_f32_e32 v26, v33, v26
	v_fma_f32 v30, v17, s10, -v27
	v_fmac_f32_e32 v27, 0x3f575c64, v17
	v_add_f32_e32 v78, v25, v14
	v_mul_f32_e32 v14, 0xbf4178ce, v10
	v_add_f32_e32 v41, v47, v41
	v_add_f32_e32 v34, v40, v34
	;; [unrolled: 1-line block ×3, first 2 shown]
	v_mul_f32_e32 v31, 0xbe903f40, v22
	v_add_f32_e32 v77, v26, v15
	v_fma_f32 v15, v11, s11, -v14
	v_fmac_f32_e32 v14, 0xbf27a4f4, v11
	v_add_f32_e32 v43, v49, v43
	v_add_f32_e32 v35, v41, v35
	;; [unrolled: 1-line block ×3, first 2 shown]
	v_fma_f32 v32, v17, s14, -v31
	v_fmac_f32_e32 v31, 0xbf75a155, v17
	v_mul_f32_e32 v22, 0x3f68dda4, v22
	v_add_f32_e32 v80, v27, v14
	v_mul_f32_e32 v14, 0x3f68dda4, v10
	v_add_f32_e32 v42, v48, v42
	v_add_f32_e32 v37, v43, v37
	;; [unrolled: 1-line block ×3, first 2 shown]
	v_fma_f32 v33, v17, s6, -v22
	v_add_f32_e32 v79, v30, v15
	v_fma_f32 v15, v11, s6, -v14
	v_fmac_f32_e32 v14, 0x3ed4b147, v11
	v_mul_f32_e32 v10, 0xbf7d64f0, v10
	s_movk_i32 s4, 0xffd8
	v_add_f32_e32 v36, v42, v36
	v_add_f32_e32 v33, v37, v33
	v_fmac_f32_e32 v22, 0x3ed4b147, v17
	v_add_f32_e32 v82, v31, v14
	v_fma_f32 v14, v11, s7, -v10
	v_mad_i32_i24 v50, v68, s4, v72
	v_add_f32_e32 v32, v36, v32
	v_add_f32_e32 v16, v16, v22
	;; [unrolled: 1-line block ×3, first 2 shown]
	v_fmac_f32_e32 v10, 0xbe11bafb, v11
	v_add_u32_e32 v51, 0x400, v50
	v_add_u32_e32 v48, 0x600, v50
	;; [unrolled: 1-line block ×4, first 2 shown]
	v_mad_i32_i24 v14, v70, s4, v71
	v_add_u32_e32 v49, 0x800, v50
	v_add_f32_e32 v81, v32, v15
	v_add_f32_e32 v84, v16, v10
	s_waitcnt lgkmcnt(0)
	; wave barrier
	s_waitcnt lgkmcnt(0)
	ds_read2_b32 v[10:11], v50 offset1:110
	ds_read2_b32 v[42:43], v51 offset0:19 offset1:74
	ds_read2_b32 v[22:23], v48 offset0:111 offset1:166
	;; [unrolled: 1-line block ×4, first 2 shown]
	ds_read_b32 v58, v14
	ds_read2_b32 v[36:37], v49 offset0:93 offset1:148
	ds_read2_b32 v[34:35], v47 offset0:131 offset1:186
	;; [unrolled: 1-line block ×5, first 2 shown]
	v_add_u32_e32 v56, 0xa00, v50
	v_add_u32_e32 v57, 0x1200, v50
	ds_read2_b32 v[26:27], v56 offset0:75 offset1:130
	ds_read2_b32 v[24:25], v57 offset0:113 offset1:168
	v_add_u32_e32 v52, 0x6e, v68
	v_mul_i32_i24_e32 v59, 0xffffffd8, v70
	s_waitcnt lgkmcnt(0)
	; wave barrier
	s_waitcnt lgkmcnt(0)
	ds_write2_b32 v72, v2, v61 offset1:1
	ds_write2_b32 v72, v53, v64 offset0:2 offset1:3
	ds_write2_b32 v72, v66, v60 offset0:4 offset1:5
	;; [unrolled: 1-line block ×4, first 2 shown]
	ds_write_b32 v72, v62 offset:40
	ds_write2_b32 v71, v74, v75 offset1:1
	ds_write2_b32 v71, v77, v79 offset0:2 offset1:3
	ds_write2_b32 v71, v81, v83 offset0:4 offset1:5
	;; [unrolled: 1-line block ×4, first 2 shown]
	ds_write_b32 v71, v76 offset:40
	s_and_saveexec_b64 s[4:5], s[0:1]
	s_cbranch_execz .LBB0_19
; %bb.18:
	v_add_f32_e32 v2, v3, v29
	v_add_f32_e32 v2, v2, v13
	;; [unrolled: 1-line block ×9, first 2 shown]
	v_sub_f32_e32 v28, v28, v54
	v_add_f32_e32 v2, v55, v2
	v_add_f32_e32 v29, v29, v55
	v_mul_f32_e32 v53, 0xbf0a6770, v28
	s_mov_b32 s0, 0x3f575c64
	v_mul_f32_e32 v55, 0xbf68dda4, v28
	s_mov_b32 s1, 0x3ed4b147
	;; [unrolled: 2-line block ×5, first 2 shown]
	v_fma_f32 v54, v29, s0, -v53
	v_fmac_f32_e32 v53, 0x3f575c64, v29
	v_fma_f32 v60, v29, s1, -v55
	v_fmac_f32_e32 v55, 0x3ed4b147, v29
	;; [unrolled: 2-line block ×5, first 2 shown]
	v_sub_f32_e32 v12, v12, v44
	v_add_f32_e32 v54, v3, v54
	v_add_f32_e32 v53, v3, v53
	;; [unrolled: 1-line block ×11, first 2 shown]
	v_mul_f32_e32 v28, 0xbf68dda4, v12
	v_fma_f32 v29, v13, s1, -v28
	v_fmac_f32_e32 v28, 0x3ed4b147, v13
	v_mul_f32_e32 v44, 0xbf4178ce, v12
	v_add_f32_e32 v28, v53, v28
	v_fma_f32 v45, v13, s7, -v44
	v_fmac_f32_e32 v44, 0xbf27a4f4, v13
	v_mul_f32_e32 v53, 0x3e903f40, v12
	v_add_f32_e32 v29, v54, v29
	v_add_f32_e32 v44, v55, v44
	v_fma_f32 v54, v13, s10, -v53
	v_fmac_f32_e32 v53, 0xbf75a155, v13
	v_mul_f32_e32 v55, 0x3f7d64f0, v12
	v_mul_f32_e32 v12, 0x3f0a6770, v12
	v_add_f32_e32 v53, v61, v53
	v_fma_f32 v61, v13, s0, -v12
	v_fmac_f32_e32 v12, 0x3f575c64, v13
	v_sub_f32_e32 v4, v4, v38
	v_add_f32_e32 v3, v3, v12
	v_add_f32_e32 v5, v5, v39
	v_mul_f32_e32 v12, 0xbf7d64f0, v4
	v_add_f32_e32 v45, v60, v45
	v_fma_f32 v60, v13, s6, -v55
	v_fmac_f32_e32 v55, 0xbe11bafb, v13
	v_fma_f32 v13, v5, s6, -v12
	v_fmac_f32_e32 v12, 0xbe11bafb, v5
	v_add_f32_e32 v12, v28, v12
	v_mul_f32_e32 v28, 0x3e903f40, v4
	v_add_f32_e32 v13, v29, v13
	v_fma_f32 v29, v5, s10, -v28
	v_fmac_f32_e32 v28, 0xbf75a155, v5
	v_mul_f32_e32 v38, 0x3f68dda4, v4
	v_add_f32_e32 v28, v44, v28
	v_fma_f32 v39, v5, s1, -v38
	v_fmac_f32_e32 v38, 0x3ed4b147, v5
	v_mul_f32_e32 v44, 0xbf0a6770, v4
	v_mul_f32_e32 v4, 0xbf4178ce, v4
	v_add_f32_e32 v29, v45, v29
	v_add_f32_e32 v38, v53, v38
	v_fma_f32 v45, v5, s0, -v44
	v_fmac_f32_e32 v44, 0x3f575c64, v5
	v_fma_f32 v53, v5, s7, -v4
	v_fmac_f32_e32 v4, 0xbf27a4f4, v5
	v_sub_f32_e32 v5, v18, v20
	v_add_f32_e32 v3, v3, v4
	v_add_f32_e32 v4, v19, v21
	v_mul_f32_e32 v18, 0xbf4178ce, v5
	v_fma_f32 v19, v4, s7, -v18
	v_fmac_f32_e32 v18, 0xbf27a4f4, v4
	v_add_f32_e32 v12, v12, v18
	v_mul_f32_e32 v18, 0x3f7d64f0, v5
	v_add_f32_e32 v13, v13, v19
	v_fma_f32 v19, v4, s6, -v18
	v_fmac_f32_e32 v18, 0xbe11bafb, v4
	v_mul_f32_e32 v20, 0xbf0a6770, v5
	v_add_f32_e32 v18, v28, v18
	v_fma_f32 v21, v4, s0, -v20
	v_fmac_f32_e32 v20, 0x3f575c64, v4
	v_mul_f32_e32 v28, 0xbe903f40, v5
	v_mul_f32_e32 v5, 0x3f68dda4, v5
	v_add_f32_e32 v20, v38, v20
	v_fma_f32 v38, v4, s1, -v5
	v_fmac_f32_e32 v5, 0x3ed4b147, v4
	v_add_f32_e32 v3, v3, v5
	v_sub_f32_e32 v5, v6, v8
	v_add_f32_e32 v19, v29, v19
	v_fma_f32 v29, v4, s10, -v28
	v_fmac_f32_e32 v28, 0xbf75a155, v4
	v_add_f32_e32 v4, v7, v9
	v_mul_f32_e32 v6, 0xbe903f40, v5
	v_fma_f32 v7, v4, s10, -v6
	v_fmac_f32_e32 v6, 0xbf75a155, v4
	v_mul_f32_e32 v8, 0x3f0a6770, v5
	v_add_f32_e32 v54, v62, v54
	v_add_f32_e32 v60, v64, v60
	v_add_f32_e32 v55, v63, v55
	v_add_f32_e32 v61, v65, v61
	v_add_f32_e32 v6, v12, v6
	v_fma_f32 v9, v4, s0, -v8
	v_fmac_f32_e32 v8, 0x3f575c64, v4
	v_mul_f32_e32 v12, 0xbf4178ce, v5
	v_add_f32_e32 v39, v54, v39
	v_add_f32_e32 v45, v60, v45
	;; [unrolled: 1-line block ×6, first 2 shown]
	v_fma_f32 v13, v4, s7, -v12
	v_fmac_f32_e32 v12, 0xbf27a4f4, v4
	v_mul_f32_e32 v18, 0x3f68dda4, v5
	v_mul_f32_e32 v5, 0xbf7d64f0, v5
	v_add_f32_e32 v21, v39, v21
	v_add_f32_e32 v29, v45, v29
	;; [unrolled: 1-line block ×6, first 2 shown]
	v_fma_f32 v19, v4, s1, -v18
	v_fmac_f32_e32 v18, 0x3ed4b147, v4
	v_fma_f32 v20, v4, s6, -v5
	v_fmac_f32_e32 v5, 0xbe11bafb, v4
	v_mad_u32_u24 v4, v52, 44, 0
	v_add_f32_e32 v13, v21, v13
	v_add_f32_e32 v19, v29, v19
	;; [unrolled: 1-line block ×5, first 2 shown]
	ds_write2_b32 v4, v2, v7 offset1:1
	ds_write2_b32 v4, v9, v13 offset0:2 offset1:3
	ds_write2_b32 v4, v19, v20 offset0:4 offset1:5
	ds_write2_b32 v4, v3, v18 offset0:6 offset1:7
	ds_write2_b32 v4, v12, v8 offset0:8 offset1:9
	ds_write_b32 v4, v6 offset:40
.LBB0_19:
	s_or_b64 exec, exec, s[4:5]
	s_movk_i32 s0, 0x75
	v_mul_lo_u16_sdwa v2, v68, s0 dst_sel:DWORD dst_unused:UNUSED_PAD src0_sel:BYTE_0 src1_sel:DWORD
	v_sub_u16_sdwa v3, v68, v2 dst_sel:DWORD dst_unused:UNUSED_PAD src0_sel:DWORD src1_sel:BYTE_1
	v_lshrrev_b16_e32 v3, 1, v3
	v_and_b32_e32 v3, 0x7f, v3
	v_add_u16_sdwa v2, v3, v2 dst_sel:DWORD dst_unused:UNUSED_PAD src0_sel:DWORD src1_sel:BYTE_1
	v_lshrrev_b16_e32 v4, 3, v2
	v_mul_lo_u16_e32 v2, 11, v4
	v_sub_u16_e32 v21, v68, v2
	v_mov_b32_e32 v2, 5
	v_lshlrev_b32_sdwa v3, v2, v21 dst_sel:DWORD dst_unused:UNUSED_PAD src0_sel:DWORD src1_sel:BYTE_0
	s_waitcnt lgkmcnt(0)
	; wave barrier
	s_waitcnt lgkmcnt(0)
	global_load_dwordx4 v[60:63], v3, s[8:9] offset:16
	global_load_dwordx4 v[64:67], v3, s[8:9]
	v_mul_lo_u16_sdwa v3, v70, s0 dst_sel:DWORD dst_unused:UNUSED_PAD src0_sel:BYTE_0 src1_sel:DWORD
	v_sub_u16_sdwa v5, v70, v3 dst_sel:DWORD dst_unused:UNUSED_PAD src0_sel:DWORD src1_sel:BYTE_1
	v_lshrrev_b16_e32 v5, 1, v5
	v_and_b32_e32 v5, 0x7f, v5
	v_add_u16_sdwa v3, v5, v3 dst_sel:DWORD dst_unused:UNUSED_PAD src0_sel:DWORD src1_sel:BYTE_1
	v_lshrrev_b16_e32 v7, 3, v3
	v_mul_lo_u16_e32 v3, 11, v7
	v_sub_u16_e32 v55, v70, v3
	v_lshlrev_b32_sdwa v3, v2, v55 dst_sel:DWORD dst_unused:UNUSED_PAD src0_sel:DWORD src1_sel:BYTE_0
	global_load_dwordx4 v[72:75], v3, s[8:9]
	global_load_dwordx4 v[76:79], v3, s[8:9] offset:16
	v_mul_lo_u16_sdwa v3, v52, s0 dst_sel:DWORD dst_unused:UNUSED_PAD src0_sel:BYTE_0 src1_sel:DWORD
	v_sub_u16_sdwa v5, v52, v3 dst_sel:DWORD dst_unused:UNUSED_PAD src0_sel:DWORD src1_sel:BYTE_1
	v_lshrrev_b16_e32 v5, 1, v5
	v_and_b32_e32 v5, 0x7f, v5
	v_add_u16_sdwa v3, v5, v3 dst_sel:DWORD dst_unused:UNUSED_PAD src0_sel:DWORD src1_sel:BYTE_1
	v_lshrrev_b16_e32 v8, 3, v3
	v_mul_lo_u16_e32 v3, 11, v8
	v_sub_u16_e32 v116, v52, v3
	v_lshlrev_b32_sdwa v3, v2, v116 dst_sel:DWORD dst_unused:UNUSED_PAD src0_sel:DWORD src1_sel:BYTE_0
	v_add_u32_e32 v54, 0xa5, v68
	global_load_dwordx4 v[80:83], v3, s[8:9]
	global_load_dwordx4 v[84:87], v3, s[8:9] offset:16
	v_mul_lo_u16_sdwa v3, v54, s0 dst_sel:DWORD dst_unused:UNUSED_PAD src0_sel:BYTE_0 src1_sel:DWORD
	v_sub_u16_sdwa v5, v54, v3 dst_sel:DWORD dst_unused:UNUSED_PAD src0_sel:DWORD src1_sel:BYTE_1
	v_lshrrev_b16_e32 v5, 1, v5
	v_and_b32_e32 v5, 0x7f, v5
	v_add_u16_sdwa v3, v5, v3 dst_sel:DWORD dst_unused:UNUSED_PAD src0_sel:DWORD src1_sel:BYTE_1
	v_lshrrev_b16_e32 v9, 3, v3
	v_mul_lo_u16_e32 v3, 11, v9
	v_sub_u16_e32 v117, v54, v3
	v_lshlrev_b32_sdwa v2, v2, v117 dst_sel:DWORD dst_unused:UNUSED_PAD src0_sel:DWORD src1_sel:BYTE_0
	global_load_dwordx4 v[88:91], v2, s[8:9]
	global_load_dwordx4 v[92:95], v2, s[8:9] offset:16
	v_add_u32_e32 v53, 0xdc, v68
	s_mov_b32 s0, 0xba2f
	v_mul_u32_u24_sdwa v5, v53, s0 dst_sel:DWORD dst_unused:UNUSED_PAD src0_sel:WORD_0 src1_sel:DWORD
	v_lshrrev_b32_e32 v13, 19, v5
	v_mul_lo_u16_e32 v5, 11, v13
	v_sub_u16_e32 v118, v53, v5
	v_lshlrev_b32_e32 v5, 5, v118
	ds_read2_b32 v[2:3], v50 offset1:110
	ds_read2_b32 v[18:19], v51 offset0:19 offset1:74
	ds_read2_b32 v[28:29], v48 offset0:111 offset1:166
	;; [unrolled: 1-line block ×4, first 2 shown]
	global_load_dwordx4 v[96:99], v5, s[8:9] offset:16
	global_load_dwordx4 v[100:103], v5, s[8:9]
	ds_read2_b32 v[104:105], v49 offset0:93 offset1:148
	ds_read2_b32 v[106:107], v47 offset0:131 offset1:186
	;; [unrolled: 1-line block ×7, first 2 shown]
	v_add_u32_e32 v20, v71, v59
	ds_read_b32 v12, v20
	v_mov_b32_e32 v59, 2
	v_lshlrev_b32_sdwa v21, v59, v21 dst_sel:DWORD dst_unused:UNUSED_PAD src0_sel:DWORD src1_sel:BYTE_0
	v_mul_u32_u24_e32 v4, 0xdc, v4
	v_lshlrev_b32_sdwa v55, v59, v55 dst_sel:DWORD dst_unused:UNUSED_PAD src0_sel:DWORD src1_sel:BYTE_0
	s_waitcnt lgkmcnt(0)
	; wave barrier
	s_waitcnt vmcnt(9) lgkmcnt(0)
	v_mul_f32_e32 v120, v38, v61
	s_waitcnt vmcnt(8)
	v_mul_f32_e32 v119, v29, v67
	v_mul_f32_e32 v67, v23, v67
	;; [unrolled: 1-line block ×3, first 2 shown]
	v_fmac_f32_e32 v119, v23, v66
	v_fma_f32 v23, v29, v66, -v67
	v_fma_f32 v29, v38, v60, -v61
	v_fmac_f32_e32 v120, v40, v60
	v_mul_f32_e32 v71, v18, v65
	v_mul_f32_e32 v65, v42, v65
	s_waitcnt vmcnt(7)
	v_mul_f32_e32 v38, v43, v73
	v_mul_f32_e32 v122, v19, v73
	v_fma_f32 v19, v19, v72, -v38
	v_mul_f32_e32 v38, v104, v75
	v_fmac_f32_e32 v38, v36, v74
	v_mul_f32_e32 v36, v36, v75
	s_waitcnt vmcnt(6)
	v_mul_f32_e32 v40, v39, v77
	v_mul_f32_e32 v121, v45, v63
	;; [unrolled: 1-line block ×3, first 2 shown]
	v_fma_f32 v36, v104, v74, -v36
	v_fmac_f32_e32 v40, v41, v76
	v_mul_f32_e32 v41, v41, v77
	v_add_f32_e32 v74, v119, v120
	v_fma_f32 v18, v18, v64, -v65
	v_fmac_f32_e32 v121, v17, v62
	v_fma_f32 v17, v45, v62, -v63
	v_fma_f32 v39, v39, v76, -v41
	v_mul_f32_e32 v41, v106, v79
	v_fma_f32 v74, -0.5, v74, v10
	v_fmac_f32_e32 v71, v42, v64
	v_fmac_f32_e32 v41, v34, v78
	v_mul_f32_e32 v34, v34, v79
	v_sub_f32_e32 v75, v18, v17
	v_mov_b32_e32 v76, v74
	v_fma_f32 v34, v106, v78, -v34
	v_fmac_f32_e32 v76, 0xbf737871, v75
	v_sub_f32_e32 v77, v23, v29
	v_sub_f32_e32 v78, v71, v119
	;; [unrolled: 1-line block ×3, first 2 shown]
	v_fmac_f32_e32 v74, 0x3f737871, v75
	v_fmac_f32_e32 v76, 0xbf167918, v77
	v_add_f32_e32 v78, v78, v79
	v_fmac_f32_e32 v74, 0x3f167918, v77
	v_fmac_f32_e32 v76, 0x3e9e377a, v78
	;; [unrolled: 1-line block ×3, first 2 shown]
	v_add_f32_e32 v78, v71, v121
	v_add_f32_e32 v73, v10, v71
	v_fma_f32 v10, -0.5, v78, v10
	v_mov_b32_e32 v78, v10
	v_fmac_f32_e32 v78, 0x3f737871, v77
	v_fmac_f32_e32 v10, 0xbf737871, v77
	;; [unrolled: 1-line block ×4, first 2 shown]
	v_add_f32_e32 v75, v2, v18
	v_add_f32_e32 v75, v75, v23
	v_fmac_f32_e32 v122, v43, v72
	s_waitcnt vmcnt(5)
	v_mul_f32_e32 v43, v108, v81
	s_waitcnt vmcnt(4)
	v_mul_f32_e32 v61, v107, v87
	;; [unrolled: 2-line block ×3, first 2 shown]
	v_add_f32_e32 v75, v75, v29
	v_fmac_f32_e32 v43, v32, v80
	v_mul_f32_e32 v32, v32, v81
	v_fmac_f32_e32 v61, v35, v86
	v_mul_f32_e32 v35, v35, v87
	;; [unrolled: 2-line block ×3, first 2 shown]
	v_add_f32_e32 v87, v75, v17
	v_add_f32_e32 v75, v23, v29
	v_fma_f32 v32, v108, v80, -v32
	v_fma_f32 v33, v109, v88, -v33
	v_sub_f32_e32 v79, v119, v71
	v_sub_f32_e32 v80, v120, v121
	v_fma_f32 v88, -0.5, v75, v2
	v_add_f32_e32 v79, v79, v80
	v_sub_f32_e32 v71, v71, v121
	v_mov_b32_e32 v89, v88
	v_fmac_f32_e32 v78, 0x3e9e377a, v79
	v_fmac_f32_e32 v10, 0x3e9e377a, v79
	;; [unrolled: 1-line block ×3, first 2 shown]
	v_sub_f32_e32 v75, v119, v120
	v_sub_f32_e32 v77, v18, v23
	;; [unrolled: 1-line block ×3, first 2 shown]
	v_fmac_f32_e32 v88, 0xbf737871, v71
	v_fmac_f32_e32 v89, 0x3f167918, v75
	v_add_f32_e32 v77, v77, v79
	v_fmac_f32_e32 v88, 0xbf167918, v75
	v_mul_f32_e32 v63, v112, v91
	v_fmac_f32_e32 v89, 0x3e9e377a, v77
	v_fmac_f32_e32 v88, 0x3e9e377a, v77
	v_add_f32_e32 v77, v18, v17
	v_sub_f32_e32 v18, v23, v18
	v_sub_f32_e32 v17, v29, v17
	v_fmac_f32_e32 v63, v26, v90
	v_mul_f32_e32 v26, v26, v91
	v_fma_f32 v2, -0.5, v77, v2
	v_add_f32_e32 v17, v18, v17
	v_add_f32_e32 v18, v38, v40
	v_fma_f32 v26, v112, v90, -v26
	v_mov_b32_e32 v90, v2
	v_fma_f32 v18, -0.5, v18, v58
	v_fmac_f32_e32 v90, 0xbf737871, v75
	v_fmac_f32_e32 v2, 0x3f737871, v75
	v_sub_f32_e32 v23, v19, v34
	v_mov_b32_e32 v29, v18
	v_fmac_f32_e32 v90, 0x3f167918, v71
	v_fmac_f32_e32 v2, 0xbf167918, v71
	;; [unrolled: 1-line block ×3, first 2 shown]
	v_sub_f32_e32 v71, v36, v39
	v_sub_f32_e32 v75, v122, v38
	;; [unrolled: 1-line block ×3, first 2 shown]
	v_fmac_f32_e32 v18, 0x3f737871, v23
	v_fmac_f32_e32 v29, 0xbf167918, v71
	v_add_f32_e32 v75, v75, v77
	v_fmac_f32_e32 v18, 0x3f167918, v71
	v_fmac_f32_e32 v29, 0x3e9e377a, v75
	;; [unrolled: 1-line block ×3, first 2 shown]
	v_add_f32_e32 v75, v122, v41
	v_fmac_f32_e32 v90, 0x3e9e377a, v17
	v_fmac_f32_e32 v2, 0x3e9e377a, v17
	v_add_f32_e32 v17, v58, v122
	v_fmac_f32_e32 v58, -0.5, v75
	v_mov_b32_e32 v75, v58
	s_waitcnt vmcnt(2)
	v_mul_f32_e32 v64, v111, v93
	v_add_f32_e32 v17, v17, v38
	v_fmac_f32_e32 v75, 0x3f737871, v71
	v_fmac_f32_e32 v58, 0xbf737871, v71
	v_add_f32_e32 v71, v36, v39
	v_fmac_f32_e32 v64, v31, v92
	v_mul_f32_e32 v31, v31, v93
	v_add_f32_e32 v17, v17, v40
	v_fma_f32 v91, -0.5, v71, v12
	v_fma_f32 v31, v111, v92, -v31
	v_add_f32_e32 v17, v17, v41
	v_fmac_f32_e32 v75, 0xbf167918, v23
	v_sub_f32_e32 v79, v40, v41
	v_fmac_f32_e32 v58, 0x3f167918, v23
	v_add_f32_e32 v23, v12, v19
	v_sub_f32_e32 v41, v122, v41
	v_mov_b32_e32 v92, v91
	v_sub_f32_e32 v77, v38, v122
	v_add_f32_e32 v23, v23, v36
	v_fmac_f32_e32 v92, 0x3f737871, v41
	v_sub_f32_e32 v38, v38, v40
	v_sub_f32_e32 v40, v19, v36
	v_sub_f32_e32 v71, v34, v39
	v_fmac_f32_e32 v91, 0xbf737871, v41
	v_mul_f32_e32 v45, v105, v83
	v_mul_f32_e32 v60, v110, v85
	v_add_f32_e32 v23, v23, v39
	v_fmac_f32_e32 v92, 0x3f167918, v38
	v_add_f32_e32 v40, v40, v71
	v_fmac_f32_e32 v91, 0xbf167918, v38
	v_fmac_f32_e32 v45, v37, v82
	;; [unrolled: 1-line block ×3, first 2 shown]
	v_add_f32_e32 v23, v23, v34
	v_fmac_f32_e32 v92, 0x3e9e377a, v40
	v_fmac_f32_e32 v91, 0x3e9e377a, v40
	v_add_f32_e32 v40, v19, v34
	v_sub_f32_e32 v19, v36, v19
	v_sub_f32_e32 v34, v39, v34
	v_fmac_f32_e32 v12, -0.5, v40
	v_add_f32_e32 v19, v19, v34
	v_add_f32_e32 v34, v45, v60
	v_mul_f32_e32 v37, v37, v83
	v_mul_f32_e32 v30, v30, v85
	v_fma_f32 v35, v107, v86, -v35
	v_mov_b32_e32 v40, v12
	v_fma_f32 v34, -0.5, v34, v11
	v_fma_f32 v37, v105, v82, -v37
	v_fma_f32 v30, v110, v84, -v30
	v_fmac_f32_e32 v40, 0xbf737871, v38
	v_fmac_f32_e32 v12, 0x3f737871, v38
	v_sub_f32_e32 v36, v32, v35
	v_mov_b32_e32 v38, v34
	v_fmac_f32_e32 v40, 0x3f167918, v41
	v_fmac_f32_e32 v12, 0xbf167918, v41
	;; [unrolled: 1-line block ×3, first 2 shown]
	v_sub_f32_e32 v39, v37, v30
	v_sub_f32_e32 v41, v43, v45
	;; [unrolled: 1-line block ×3, first 2 shown]
	v_fmac_f32_e32 v34, 0x3f737871, v36
	v_fmac_f32_e32 v38, 0xbf167918, v39
	v_add_f32_e32 v41, v41, v71
	v_fmac_f32_e32 v34, 0x3f167918, v39
	v_fmac_f32_e32 v38, 0x3e9e377a, v41
	;; [unrolled: 1-line block ×3, first 2 shown]
	v_add_f32_e32 v41, v43, v61
	v_fmac_f32_e32 v40, 0x3e9e377a, v19
	v_fmac_f32_e32 v12, 0x3e9e377a, v19
	v_add_f32_e32 v19, v11, v43
	v_fmac_f32_e32 v11, -0.5, v41
	v_mov_b32_e32 v41, v11
	v_add_f32_e32 v77, v77, v79
	v_add_f32_e32 v19, v19, v45
	v_fmac_f32_e32 v41, 0x3f737871, v39
	v_fmac_f32_e32 v11, 0xbf737871, v39
	v_add_f32_e32 v39, v37, v30
	v_fmac_f32_e32 v75, 0x3e9e377a, v77
	v_fmac_f32_e32 v58, 0x3e9e377a, v77
	v_add_f32_e32 v19, v19, v60
	v_sub_f32_e32 v71, v45, v43
	v_sub_f32_e32 v77, v60, v61
	v_fma_f32 v39, -0.5, v39, v3
	v_add_f32_e32 v19, v19, v61
	v_fmac_f32_e32 v41, 0xbf167918, v36
	v_add_f32_e32 v71, v71, v77
	v_fmac_f32_e32 v11, 0x3f167918, v36
	v_sub_f32_e32 v43, v43, v61
	v_mov_b32_e32 v61, v39
	v_fmac_f32_e32 v41, 0x3e9e377a, v71
	v_fmac_f32_e32 v11, 0x3e9e377a, v71
	v_add_f32_e32 v36, v3, v32
	v_fmac_f32_e32 v61, 0x3f737871, v43
	v_sub_f32_e32 v45, v45, v60
	v_sub_f32_e32 v60, v32, v37
	;; [unrolled: 1-line block ×3, first 2 shown]
	v_fmac_f32_e32 v39, 0xbf737871, v43
	v_add_f32_e32 v36, v36, v37
	v_fmac_f32_e32 v61, 0x3f167918, v45
	v_add_f32_e32 v60, v60, v71
	v_fmac_f32_e32 v39, 0xbf167918, v45
	v_mul_f32_e32 v65, v114, v95
	v_add_f32_e32 v36, v36, v30
	v_fmac_f32_e32 v61, 0x3e9e377a, v60
	v_fmac_f32_e32 v39, 0x3e9e377a, v60
	v_add_f32_e32 v60, v32, v35
	v_sub_f32_e32 v32, v37, v32
	v_sub_f32_e32 v30, v30, v35
	v_fmac_f32_e32 v65, v24, v94
	v_mul_f32_e32 v24, v24, v95
	v_fmac_f32_e32 v3, -0.5, v60
	v_add_f32_e32 v30, v32, v30
	v_add_f32_e32 v32, v63, v64
	v_fma_f32 v24, v114, v94, -v24
	v_mov_b32_e32 v60, v3
	v_fma_f32 v32, -0.5, v32, v14
	v_add_f32_e32 v36, v36, v35
	v_fmac_f32_e32 v60, 0xbf737871, v45
	v_fmac_f32_e32 v3, 0x3f737871, v45
	v_sub_f32_e32 v35, v33, v24
	v_mov_b32_e32 v37, v32
	v_fmac_f32_e32 v60, 0x3f167918, v43
	v_fmac_f32_e32 v3, 0xbf167918, v43
	;; [unrolled: 1-line block ×3, first 2 shown]
	v_sub_f32_e32 v43, v26, v31
	v_sub_f32_e32 v45, v62, v63
	;; [unrolled: 1-line block ×3, first 2 shown]
	v_fmac_f32_e32 v32, 0x3f737871, v35
	v_fmac_f32_e32 v37, 0xbf167918, v43
	v_add_f32_e32 v45, v45, v71
	v_fmac_f32_e32 v32, 0x3f167918, v43
	v_fmac_f32_e32 v37, 0x3e9e377a, v45
	;; [unrolled: 1-line block ×3, first 2 shown]
	v_add_f32_e32 v45, v62, v65
	v_fmac_f32_e32 v60, 0x3e9e377a, v30
	v_fmac_f32_e32 v3, 0x3e9e377a, v30
	v_add_f32_e32 v30, v14, v62
	v_fma_f32 v14, -0.5, v45, v14
	v_mov_b32_e32 v45, v14
	v_add_f32_e32 v30, v30, v63
	v_fmac_f32_e32 v45, 0x3f737871, v43
	v_fmac_f32_e32 v14, 0xbf737871, v43
	v_add_f32_e32 v43, v26, v31
	v_add_f32_e32 v30, v30, v64
	v_sub_f32_e32 v71, v63, v62
	v_sub_f32_e32 v77, v64, v65
	v_fma_f32 v43, -0.5, v43, v5
	v_add_f32_e32 v30, v30, v65
	v_fmac_f32_e32 v45, 0xbf167918, v35
	v_add_f32_e32 v71, v71, v77
	v_fmac_f32_e32 v14, 0x3f167918, v35
	v_sub_f32_e32 v62, v62, v65
	v_mov_b32_e32 v65, v43
	s_waitcnt vmcnt(0)
	v_mul_f32_e32 v67, v28, v101
	v_fmac_f32_e32 v45, 0x3e9e377a, v71
	v_fmac_f32_e32 v14, 0x3e9e377a, v71
	v_add_f32_e32 v35, v5, v33
	v_fmac_f32_e32 v65, 0x3f737871, v62
	v_sub_f32_e32 v63, v63, v64
	v_sub_f32_e32 v64, v33, v26
	;; [unrolled: 1-line block ×3, first 2 shown]
	v_fmac_f32_e32 v43, 0xbf737871, v62
	v_fmac_f32_e32 v67, v22, v100
	v_mul_f32_e32 v22, v22, v101
	v_mul_f32_e32 v72, v44, v97
	v_add_f32_e32 v35, v35, v26
	v_fmac_f32_e32 v65, 0x3f167918, v63
	v_add_f32_e32 v64, v64, v71
	v_fmac_f32_e32 v43, 0xbf167918, v63
	v_fma_f32 v22, v28, v100, -v22
	v_mul_f32_e32 v28, v113, v103
	v_fmac_f32_e32 v72, v16, v96
	v_mul_f32_e32 v16, v16, v97
	v_add_f32_e32 v35, v35, v31
	v_fmac_f32_e32 v65, 0x3e9e377a, v64
	v_fmac_f32_e32 v43, 0x3e9e377a, v64
	v_add_f32_e32 v64, v33, v24
	v_fmac_f32_e32 v28, v27, v102
	v_fma_f32 v16, v44, v96, -v16
	v_mul_f32_e32 v44, v115, v99
	v_add_f32_e32 v35, v35, v24
	v_fma_f32 v64, -0.5, v64, v5
	v_sub_f32_e32 v5, v26, v33
	v_sub_f32_e32 v24, v31, v24
	v_fmac_f32_e32 v44, v25, v98
	v_mul_f32_e32 v25, v25, v99
	v_add_f32_e32 v5, v5, v24
	v_add_f32_e32 v24, v28, v72
	v_mul_f32_e32 v27, v27, v103
	v_fma_f32 v25, v115, v98, -v25
	v_mov_b32_e32 v93, v64
	v_fma_f32 v24, -0.5, v24, v15
	v_fma_f32 v27, v113, v102, -v27
	v_fmac_f32_e32 v93, 0xbf737871, v63
	v_fmac_f32_e32 v64, 0x3f737871, v63
	v_sub_f32_e32 v26, v22, v25
	v_mov_b32_e32 v31, v24
	v_fmac_f32_e32 v93, 0x3f167918, v62
	v_fmac_f32_e32 v64, 0xbf167918, v62
	;; [unrolled: 1-line block ×3, first 2 shown]
	v_sub_f32_e32 v33, v27, v16
	v_sub_f32_e32 v62, v67, v28
	;; [unrolled: 1-line block ×3, first 2 shown]
	v_fmac_f32_e32 v24, 0x3f737871, v26
	v_fmac_f32_e32 v31, 0xbf167918, v33
	v_add_f32_e32 v62, v62, v63
	v_fmac_f32_e32 v24, 0x3f167918, v33
	v_fmac_f32_e32 v31, 0x3e9e377a, v62
	v_fmac_f32_e32 v24, 0x3e9e377a, v62
	v_add_f32_e32 v62, v67, v44
	v_fmac_f32_e32 v93, 0x3e9e377a, v5
	v_fmac_f32_e32 v64, 0x3e9e377a, v5
	v_add_f32_e32 v5, v15, v67
	v_fmac_f32_e32 v15, -0.5, v62
	v_mov_b32_e32 v62, v15
	v_add_f32_e32 v5, v5, v28
	v_fmac_f32_e32 v62, 0x3f737871, v33
	v_sub_f32_e32 v63, v28, v67
	v_sub_f32_e32 v71, v72, v44
	v_fmac_f32_e32 v15, 0xbf737871, v33
	v_add_f32_e32 v33, v27, v16
	v_add_f32_e32 v5, v5, v72
	v_fmac_f32_e32 v62, 0xbf167918, v26
	v_add_f32_e32 v63, v63, v71
	v_fmac_f32_e32 v15, 0x3f167918, v26
	v_fma_f32 v33, -0.5, v33, v6
	v_add_f32_e32 v5, v5, v44
	v_fmac_f32_e32 v62, 0x3e9e377a, v63
	v_fmac_f32_e32 v15, 0x3e9e377a, v63
	v_sub_f32_e32 v44, v67, v44
	v_mov_b32_e32 v63, v33
	v_fmac_f32_e32 v63, 0x3f737871, v44
	v_sub_f32_e32 v28, v28, v72
	v_sub_f32_e32 v67, v22, v27
	;; [unrolled: 1-line block ×3, first 2 shown]
	v_fmac_f32_e32 v33, 0xbf737871, v44
	v_fmac_f32_e32 v63, 0x3f167918, v28
	v_add_f32_e32 v67, v67, v71
	v_fmac_f32_e32 v33, 0xbf167918, v28
	v_fmac_f32_e32 v63, 0x3e9e377a, v67
	;; [unrolled: 1-line block ×3, first 2 shown]
	v_add_f32_e32 v67, v22, v25
	v_add_f32_e32 v26, v6, v22
	v_fmac_f32_e32 v6, -0.5, v67
	v_add_f32_e32 v26, v26, v27
	v_mov_b32_e32 v94, v6
	v_add_f32_e32 v26, v26, v16
	v_fmac_f32_e32 v94, 0xbf737871, v28
	v_sub_f32_e32 v22, v27, v22
	v_sub_f32_e32 v16, v16, v25
	v_fmac_f32_e32 v6, 0x3f737871, v28
	v_add_f32_e32 v73, v73, v119
	v_fmac_f32_e32 v94, 0x3f167918, v44
	v_add_f32_e32 v16, v22, v16
	;; [unrolled: 2-line block ×3, first 2 shown]
	v_fmac_f32_e32 v94, 0x3e9e377a, v16
	v_fmac_f32_e32 v6, 0x3e9e377a, v16
	v_add3_u32 v16, 0, v4, v21
	v_mul_u32_u24_e32 v4, 0xdc, v7
	v_lshlrev_b32_sdwa v42, v59, v116 dst_sel:DWORD dst_unused:UNUSED_PAD src0_sel:DWORD src1_sel:BYTE_0
	v_add_f32_e32 v73, v73, v121
	v_add3_u32 v7, 0, v4, v55
	v_mul_u32_u24_e32 v4, 0xdc, v8
	v_lshlrev_b32_sdwa v59, v59, v117 dst_sel:DWORD dst_unused:UNUSED_PAD src0_sel:DWORD src1_sel:BYTE_0
	ds_write2_b32 v16, v73, v76 offset1:11
	ds_write2_b32 v16, v78, v10 offset0:22 offset1:33
	ds_write_b32 v16, v74 offset:176
	v_add3_u32 v10, 0, v4, v42
	v_mul_u32_u24_e32 v4, 0xdc, v9
	v_lshlrev_b32_e32 v66, 2, v118
	ds_write2_b32 v7, v17, v29 offset1:11
	ds_write2_b32 v7, v75, v58 offset0:22 offset1:33
	ds_write_b32 v7, v18 offset:176
	ds_write2_b32 v10, v19, v38 offset1:11
	ds_write2_b32 v10, v41, v11 offset0:22 offset1:33
	ds_write_b32 v10, v34 offset:176
	v_add3_u32 v11, 0, v4, v59
	v_mul_u32_u24_e32 v4, 0xdc, v13
	v_add3_u32 v13, 0, v4, v66
	v_add_f32_e32 v26, v26, v25
	ds_write2_b32 v11, v30, v37 offset1:11
	ds_write2_b32 v11, v45, v14 offset0:22 offset1:33
	ds_write_b32 v11, v32 offset:176
	ds_write2_b32 v13, v5, v31 offset1:11
	ds_write2_b32 v13, v62, v15 offset0:22 offset1:33
	ds_write_b32 v13, v24 offset:176
	s_waitcnt lgkmcnt(0)
	; wave barrier
	s_waitcnt lgkmcnt(0)
	ds_read2_b32 v[4:5], v50 offset1:110
	ds_read2_b32 v[18:19], v51 offset0:19 offset1:74
	ds_read2_b32 v[66:67], v48 offset0:111 offset1:166
	;; [unrolled: 1-line block ×4, first 2 shown]
	ds_read_b32 v14, v20
	ds_read2_b32 v[75:76], v49 offset0:93 offset1:148
	ds_read2_b32 v[77:78], v47 offset0:131 offset1:186
	;; [unrolled: 1-line block ×7, first 2 shown]
	s_waitcnt lgkmcnt(0)
	; wave barrier
	s_waitcnt lgkmcnt(0)
	ds_write2_b32 v16, v87, v89 offset1:11
	ds_write2_b32 v16, v90, v2 offset0:22 offset1:33
	ds_write_b32 v16, v88 offset:176
	ds_write2_b32 v7, v23, v92 offset1:11
	ds_write2_b32 v7, v40, v12 offset0:22 offset1:33
	ds_write_b32 v7, v91 offset:176
	;; [unrolled: 3-line block ×5, first 2 shown]
	v_lshlrev_b32_e32 v6, 2, v68
	v_mov_b32_e32 v7, 0
	v_lshlrev_b64 v[2:3], 3, v[6:7]
	v_mov_b32_e32 v6, s9
	v_add_co_u32_e64 v2, s[0:1], s8, v2
	v_addc_co_u32_e64 v3, s[0:1], v6, v3, s[0:1]
	s_movk_i32 s0, 0x95
	v_mul_lo_u16_sdwa v6, v52, s0 dst_sel:DWORD dst_unused:UNUSED_PAD src0_sel:BYTE_0 src1_sel:DWORD
	v_lshrrev_b16_e32 v6, 13, v6
	v_mul_lo_u16_e32 v6, 55, v6
	s_waitcnt lgkmcnt(0)
	; wave barrier
	s_waitcnt lgkmcnt(0)
	global_load_dwordx4 v[21:24], v[2:3], off offset:352
	global_load_dwordx4 v[25:28], v[2:3], off offset:368
	v_sub_u16_e32 v6, v52, v6
	v_and_b32_e32 v6, 0xff, v6
	v_lshlrev_b32_e32 v10, 5, v6
	global_load_dwordx4 v[29:32], v10, s[8:9] offset:352
	global_load_dwordx4 v[33:36], v10, s[8:9] offset:368
	v_mul_lo_u16_sdwa v10, v54, s0 dst_sel:DWORD dst_unused:UNUSED_PAD src0_sel:BYTE_0 src1_sel:DWORD
	v_lshrrev_b16_e32 v10, 13, v10
	v_mul_lo_u16_e32 v10, 55, v10
	v_sub_u16_e32 v10, v54, v10
	v_and_b32_e32 v15, 0xff, v10
	v_lshlrev_b32_e32 v10, 5, v15
	s_movk_i32 s0, 0x29e5
	global_load_dwordx4 v[37:40], v10, s[8:9] offset:352
	global_load_dwordx4 v[41:44], v10, s[8:9] offset:368
	v_mul_u32_u24_sdwa v10, v53, s0 dst_sel:DWORD dst_unused:UNUSED_PAD src0_sel:WORD_0 src1_sel:DWORD
	v_sub_u16_sdwa v11, v53, v10 dst_sel:DWORD dst_unused:UNUSED_PAD src0_sel:DWORD src1_sel:WORD_1
	v_lshrrev_b16_e32 v11, 1, v11
	v_add_u16_sdwa v10, v11, v10 dst_sel:DWORD dst_unused:UNUSED_PAD src0_sel:DWORD src1_sel:WORD_1
	v_lshrrev_b16_e32 v10, 5, v10
	v_mul_lo_u16_e32 v10, 55, v10
	v_sub_u16_e32 v17, v53, v10
	v_lshlrev_b32_e32 v10, 5, v17
	global_load_dwordx4 v[58:61], v10, s[8:9] offset:352
	global_load_dwordx4 v[62:65], v10, s[8:9] offset:368
	ds_read2_b32 v[10:11], v50 offset1:110
	ds_read2_b32 v[87:88], v51 offset0:19 offset1:74
	ds_read2_b32 v[89:90], v48 offset0:111 offset1:166
	ds_read2_b32 v[91:92], v46 offset0:57 offset1:112
	ds_read2_b32 v[93:94], v47 offset0:21 offset1:76
	ds_read_b32 v16, v20
	ds_read2_b32 v[95:96], v49 offset0:93 offset1:148
	ds_read2_b32 v[97:98], v47 offset0:131 offset1:186
	;; [unrolled: 1-line block ×7, first 2 shown]
	v_lshl_add_u32 v6, v6, 2, 0
	v_lshl_add_u32 v15, v15, 2, 0
	s_waitcnt lgkmcnt(0)
	; wave barrier
	s_waitcnt vmcnt(7) lgkmcnt(0)
	v_mul_f32_e32 v45, v87, v22
	v_fmac_f32_e32 v45, v18, v21
	v_mul_f32_e32 v18, v18, v22
	v_fma_f32 v18, v87, v21, -v18
	s_waitcnt vmcnt(6)
	v_mul_f32_e32 v87, v91, v26
	v_fmac_f32_e32 v87, v71, v25
	v_mul_f32_e32 v71, v71, v26
	v_fma_f32 v71, v91, v25, -v71
	v_mul_f32_e32 v91, v88, v22
	v_mul_f32_e32 v55, v90, v24
	v_fmac_f32_e32 v91, v19, v21
	v_mul_f32_e32 v19, v19, v22
	v_fmac_f32_e32 v55, v67, v23
	v_mul_f32_e32 v67, v67, v24
	v_fma_f32 v19, v88, v21, -v19
	v_mul_f32_e32 v21, v95, v24
	v_mul_f32_e32 v22, v75, v24
	v_fma_f32 v67, v90, v23, -v67
	v_mul_f32_e32 v90, v94, v28
	v_fmac_f32_e32 v21, v75, v23
	v_fma_f32 v22, v95, v23, -v22
	v_mul_f32_e32 v23, v92, v26
	v_mul_f32_e32 v24, v72, v26
	v_fmac_f32_e32 v90, v74, v27
	v_mul_f32_e32 v74, v74, v28
	v_fmac_f32_e32 v23, v72, v25
	v_fma_f32 v24, v92, v25, -v24
	v_mul_f32_e32 v25, v97, v28
	v_mul_f32_e32 v26, v77, v28
	v_fma_f32 v74, v94, v27, -v74
	v_fmac_f32_e32 v25, v77, v27
	v_fma_f32 v26, v97, v27, -v26
	s_waitcnt vmcnt(5)
	v_mul_f32_e32 v27, v99, v30
	v_mul_f32_e32 v28, v79, v30
	v_fmac_f32_e32 v27, v79, v29
	v_fma_f32 v28, v99, v29, -v28
	v_mul_f32_e32 v29, v96, v32
	v_mul_f32_e32 v30, v76, v32
	v_fmac_f32_e32 v29, v76, v31
	v_fma_f32 v30, v96, v31, -v30
	s_waitcnt vmcnt(4)
	v_mul_f32_e32 v31, v101, v34
	v_mul_f32_e32 v32, v81, v34
	v_fmac_f32_e32 v31, v81, v33
	v_fma_f32 v32, v101, v33, -v32
	v_mul_f32_e32 v33, v98, v36
	v_mul_f32_e32 v34, v78, v36
	;; [unrolled: 9-line block ×6, first 2 shown]
	v_add_f32_e32 v65, v55, v87
	v_fma_f32 v65, -0.5, v65, v4
	v_sub_f32_e32 v66, v18, v74
	v_mov_b32_e32 v72, v65
	v_fmac_f32_e32 v72, 0xbf737871, v66
	v_sub_f32_e32 v73, v67, v71
	v_sub_f32_e32 v75, v45, v55
	;; [unrolled: 1-line block ×3, first 2 shown]
	v_fmac_f32_e32 v65, 0x3f737871, v66
	v_fmac_f32_e32 v72, 0xbf167918, v73
	v_add_f32_e32 v75, v75, v76
	v_fmac_f32_e32 v65, 0x3f167918, v73
	v_fmac_f32_e32 v72, 0x3e9e377a, v75
	;; [unrolled: 1-line block ×3, first 2 shown]
	v_add_f32_e32 v75, v45, v90
	v_fmac_f32_e32 v62, v86, v64
	v_fma_f32 v63, v106, v64, -v63
	v_add_f32_e32 v64, v4, v45
	v_fma_f32 v4, -0.5, v75, v4
	v_mov_b32_e32 v75, v4
	v_fmac_f32_e32 v75, 0x3f737871, v73
	v_sub_f32_e32 v76, v55, v45
	v_sub_f32_e32 v77, v87, v90
	v_fmac_f32_e32 v4, 0xbf737871, v73
	v_add_f32_e32 v73, v67, v71
	v_fmac_f32_e32 v75, 0xbf167918, v66
	v_add_f32_e32 v76, v76, v77
	v_fmac_f32_e32 v4, 0x3f167918, v66
	v_fma_f32 v73, -0.5, v73, v10
	v_fmac_f32_e32 v75, 0x3e9e377a, v76
	v_fmac_f32_e32 v4, 0x3e9e377a, v76
	v_sub_f32_e32 v45, v45, v90
	v_mov_b32_e32 v76, v73
	v_add_f32_e32 v64, v64, v55
	v_fmac_f32_e32 v76, 0x3f737871, v45
	v_sub_f32_e32 v55, v55, v87
	v_sub_f32_e32 v77, v18, v67
	;; [unrolled: 1-line block ×3, first 2 shown]
	v_fmac_f32_e32 v73, 0xbf737871, v45
	v_fmac_f32_e32 v76, 0x3f167918, v55
	v_add_f32_e32 v77, v77, v78
	v_fmac_f32_e32 v73, 0xbf167918, v55
	v_fmac_f32_e32 v76, 0x3e9e377a, v77
	;; [unrolled: 1-line block ×3, first 2 shown]
	v_add_f32_e32 v77, v18, v74
	v_add_f32_e32 v66, v10, v18
	v_fma_f32 v10, -0.5, v77, v10
	v_mov_b32_e32 v77, v10
	v_fmac_f32_e32 v77, 0xbf737871, v55
	v_fmac_f32_e32 v10, 0x3f737871, v55
	;; [unrolled: 1-line block ×4, first 2 shown]
	v_add_f32_e32 v45, v21, v23
	v_add_f32_e32 v66, v66, v67
	v_sub_f32_e32 v18, v67, v18
	v_sub_f32_e32 v67, v71, v74
	v_fma_f32 v45, -0.5, v45, v14
	v_add_f32_e32 v66, v66, v71
	v_add_f32_e32 v18, v18, v67
	v_sub_f32_e32 v55, v19, v26
	v_mov_b32_e32 v67, v45
	v_add_f32_e32 v66, v66, v74
	v_fmac_f32_e32 v67, 0xbf737871, v55
	v_sub_f32_e32 v71, v22, v24
	v_sub_f32_e32 v74, v91, v21
	;; [unrolled: 1-line block ×3, first 2 shown]
	v_fmac_f32_e32 v45, 0x3f737871, v55
	v_fmac_f32_e32 v67, 0xbf167918, v71
	v_add_f32_e32 v74, v74, v78
	v_fmac_f32_e32 v45, 0x3f167918, v71
	v_fmac_f32_e32 v67, 0x3e9e377a, v74
	v_fmac_f32_e32 v45, 0x3e9e377a, v74
	v_add_f32_e32 v74, v91, v25
	v_fmac_f32_e32 v77, 0x3e9e377a, v18
	v_fmac_f32_e32 v10, 0x3e9e377a, v18
	v_add_f32_e32 v18, v14, v91
	v_fmac_f32_e32 v14, -0.5, v74
	v_mov_b32_e32 v74, v14
	v_add_f32_e32 v18, v18, v21
	v_fmac_f32_e32 v74, 0x3f737871, v71
	v_sub_f32_e32 v78, v21, v91
	v_sub_f32_e32 v79, v23, v25
	v_fmac_f32_e32 v14, 0xbf737871, v71
	v_add_f32_e32 v71, v22, v24
	v_add_f32_e32 v18, v18, v23
	v_fmac_f32_e32 v74, 0xbf167918, v55
	v_add_f32_e32 v78, v78, v79
	v_fmac_f32_e32 v14, 0x3f167918, v55
	v_fma_f32 v71, -0.5, v71, v16
	v_add_f32_e32 v18, v18, v25
	v_fmac_f32_e32 v74, 0x3e9e377a, v78
	v_fmac_f32_e32 v14, 0x3e9e377a, v78
	v_sub_f32_e32 v25, v91, v25
	v_mov_b32_e32 v78, v71
	v_fmac_f32_e32 v78, 0x3f737871, v25
	v_sub_f32_e32 v21, v21, v23
	v_sub_f32_e32 v23, v19, v22
	;; [unrolled: 1-line block ×3, first 2 shown]
	v_fmac_f32_e32 v71, 0xbf737871, v25
	v_fmac_f32_e32 v78, 0x3f167918, v21
	v_add_f32_e32 v23, v23, v79
	v_fmac_f32_e32 v71, 0xbf167918, v21
	v_fmac_f32_e32 v78, 0x3e9e377a, v23
	;; [unrolled: 1-line block ×3, first 2 shown]
	v_add_f32_e32 v23, v19, v26
	v_add_f32_e32 v55, v16, v19
	v_fmac_f32_e32 v16, -0.5, v23
	v_mov_b32_e32 v79, v16
	v_fmac_f32_e32 v79, 0xbf737871, v21
	v_fmac_f32_e32 v16, 0x3f737871, v21
	v_add_f32_e32 v21, v29, v31
	v_add_f32_e32 v55, v55, v22
	v_sub_f32_e32 v19, v22, v19
	v_sub_f32_e32 v22, v24, v26
	v_fma_f32 v21, -0.5, v21, v5
	v_add_f32_e32 v55, v55, v24
	v_add_f32_e32 v19, v19, v22
	v_sub_f32_e32 v22, v28, v34
	v_mov_b32_e32 v23, v21
	v_add_f32_e32 v55, v55, v26
	v_fmac_f32_e32 v79, 0x3f167918, v25
	v_fmac_f32_e32 v16, 0xbf167918, v25
	;; [unrolled: 1-line block ×3, first 2 shown]
	v_sub_f32_e32 v24, v30, v32
	v_sub_f32_e32 v25, v27, v29
	;; [unrolled: 1-line block ×3, first 2 shown]
	v_fmac_f32_e32 v21, 0x3f737871, v22
	v_fmac_f32_e32 v23, 0xbf167918, v24
	v_add_f32_e32 v25, v25, v26
	v_fmac_f32_e32 v21, 0x3f167918, v24
	v_fmac_f32_e32 v23, 0x3e9e377a, v25
	;; [unrolled: 1-line block ×3, first 2 shown]
	v_add_f32_e32 v25, v27, v33
	v_fmac_f32_e32 v79, 0x3e9e377a, v19
	v_fmac_f32_e32 v16, 0x3e9e377a, v19
	v_add_f32_e32 v19, v5, v27
	v_fmac_f32_e32 v5, -0.5, v25
	v_mov_b32_e32 v25, v5
	v_fmac_f32_e32 v25, 0x3f737871, v24
	v_fmac_f32_e32 v5, 0xbf737871, v24
	;; [unrolled: 1-line block ×4, first 2 shown]
	v_add_f32_e32 v22, v11, v28
	v_add_f32_e32 v22, v22, v30
	v_sub_f32_e32 v26, v29, v27
	v_sub_f32_e32 v80, v31, v33
	v_add_f32_e32 v22, v22, v32
	v_add_f32_e32 v26, v26, v80
	;; [unrolled: 1-line block ×4, first 2 shown]
	v_fma_f32 v81, -0.5, v22, v11
	v_sub_f32_e32 v22, v27, v33
	v_mov_b32_e32 v27, v81
	v_add_f32_e32 v19, v19, v29
	v_fmac_f32_e32 v25, 0x3e9e377a, v26
	v_fmac_f32_e32 v5, 0x3e9e377a, v26
	;; [unrolled: 1-line block ×3, first 2 shown]
	v_sub_f32_e32 v24, v29, v31
	v_sub_f32_e32 v26, v28, v30
	v_sub_f32_e32 v29, v34, v32
	v_fmac_f32_e32 v81, 0xbf737871, v22
	v_fmac_f32_e32 v27, 0x3f167918, v24
	v_add_f32_e32 v26, v26, v29
	v_fmac_f32_e32 v81, 0xbf167918, v24
	v_fmac_f32_e32 v27, 0x3e9e377a, v26
	;; [unrolled: 1-line block ×3, first 2 shown]
	v_add_f32_e32 v26, v28, v34
	v_fmac_f32_e32 v11, -0.5, v26
	v_mov_b32_e32 v82, v11
	v_fmac_f32_e32 v82, 0xbf737871, v24
	v_sub_f32_e32 v26, v30, v28
	v_sub_f32_e32 v28, v32, v34
	v_fmac_f32_e32 v11, 0x3f737871, v24
	v_add_f32_e32 v24, v37, v39
	v_fmac_f32_e32 v82, 0x3f167918, v22
	v_add_f32_e32 v26, v26, v28
	v_fmac_f32_e32 v11, 0xbf167918, v22
	v_fma_f32 v24, -0.5, v24, v8
	v_fmac_f32_e32 v82, 0x3e9e377a, v26
	v_fmac_f32_e32 v11, 0x3e9e377a, v26
	v_sub_f32_e32 v26, v36, v42
	v_mov_b32_e32 v28, v24
	v_add_f32_e32 v19, v19, v31
	v_fmac_f32_e32 v28, 0xbf737871, v26
	v_sub_f32_e32 v29, v38, v40
	v_sub_f32_e32 v30, v35, v37
	;; [unrolled: 1-line block ×3, first 2 shown]
	v_fmac_f32_e32 v24, 0x3f737871, v26
	v_fmac_f32_e32 v28, 0xbf167918, v29
	v_add_f32_e32 v30, v30, v31
	v_fmac_f32_e32 v24, 0x3f167918, v29
	v_fmac_f32_e32 v28, 0x3e9e377a, v30
	v_fmac_f32_e32 v24, 0x3e9e377a, v30
	v_add_f32_e32 v30, v35, v41
	v_add_f32_e32 v22, v8, v35
	v_fma_f32 v8, -0.5, v30, v8
	v_mov_b32_e32 v30, v8
	v_fmac_f32_e32 v30, 0x3f737871, v29
	v_fmac_f32_e32 v8, 0xbf737871, v29
	;; [unrolled: 1-line block ×4, first 2 shown]
	v_add_f32_e32 v26, v12, v36
	v_add_f32_e32 v26, v26, v38
	;; [unrolled: 1-line block ×5, first 2 shown]
	v_sub_f32_e32 v31, v37, v35
	v_sub_f32_e32 v32, v39, v41
	v_fma_f32 v84, -0.5, v26, v12
	v_add_f32_e32 v31, v31, v32
	v_sub_f32_e32 v26, v35, v41
	v_mov_b32_e32 v85, v84
	v_fmac_f32_e32 v30, 0x3e9e377a, v31
	v_fmac_f32_e32 v8, 0x3e9e377a, v31
	;; [unrolled: 1-line block ×3, first 2 shown]
	v_sub_f32_e32 v29, v37, v39
	v_sub_f32_e32 v31, v36, v38
	;; [unrolled: 1-line block ×3, first 2 shown]
	v_fmac_f32_e32 v84, 0xbf737871, v26
	v_fmac_f32_e32 v85, 0x3f167918, v29
	v_add_f32_e32 v31, v31, v32
	v_fmac_f32_e32 v84, 0xbf167918, v29
	v_fmac_f32_e32 v85, 0x3e9e377a, v31
	;; [unrolled: 1-line block ×3, first 2 shown]
	v_add_f32_e32 v31, v36, v42
	v_fma_f32 v12, -0.5, v31, v12
	v_add_f32_e32 v22, v22, v37
	v_mov_b32_e32 v37, v12
	v_fmac_f32_e32 v37, 0xbf737871, v29
	v_sub_f32_e32 v31, v38, v36
	v_sub_f32_e32 v32, v40, v42
	v_fmac_f32_e32 v12, 0x3f737871, v29
	v_add_f32_e32 v29, v58, v60
	v_fmac_f32_e32 v37, 0x3f167918, v26
	v_add_f32_e32 v31, v31, v32
	v_fmac_f32_e32 v12, 0xbf167918, v26
	v_fma_f32 v29, -0.5, v29, v9
	v_fmac_f32_e32 v37, 0x3e9e377a, v31
	v_fmac_f32_e32 v12, 0x3e9e377a, v31
	v_sub_f32_e32 v31, v44, v63
	v_mov_b32_e32 v32, v29
	v_add_f32_e32 v19, v19, v33
	v_fmac_f32_e32 v32, 0xbf737871, v31
	v_sub_f32_e32 v33, v59, v61
	v_sub_f32_e32 v34, v43, v58
	;; [unrolled: 1-line block ×3, first 2 shown]
	v_fmac_f32_e32 v29, 0x3f737871, v31
	v_fmac_f32_e32 v32, 0xbf167918, v33
	v_add_f32_e32 v34, v34, v35
	v_fmac_f32_e32 v29, 0x3f167918, v33
	v_fmac_f32_e32 v32, 0x3e9e377a, v34
	;; [unrolled: 1-line block ×3, first 2 shown]
	v_add_f32_e32 v34, v43, v62
	v_add_f32_e32 v26, v9, v43
	v_fmac_f32_e32 v9, -0.5, v34
	v_mov_b32_e32 v34, v9
	v_fmac_f32_e32 v34, 0x3f737871, v33
	v_fmac_f32_e32 v9, 0xbf737871, v33
	;; [unrolled: 1-line block ×4, first 2 shown]
	v_add_f32_e32 v31, v13, v44
	v_add_f32_e32 v31, v31, v59
	;; [unrolled: 1-line block ×6, first 2 shown]
	v_sub_f32_e32 v35, v58, v43
	v_sub_f32_e32 v36, v60, v62
	v_fma_f32 v39, -0.5, v31, v13
	v_add_f32_e32 v35, v35, v36
	v_sub_f32_e32 v31, v43, v62
	v_mov_b32_e32 v42, v39
	v_fmac_f32_e32 v34, 0x3e9e377a, v35
	v_fmac_f32_e32 v9, 0x3e9e377a, v35
	;; [unrolled: 1-line block ×3, first 2 shown]
	v_sub_f32_e32 v33, v58, v60
	v_sub_f32_e32 v35, v44, v59
	;; [unrolled: 1-line block ×3, first 2 shown]
	v_fmac_f32_e32 v39, 0xbf737871, v31
	v_fmac_f32_e32 v42, 0x3f167918, v33
	v_add_f32_e32 v35, v35, v36
	v_fmac_f32_e32 v39, 0xbf167918, v33
	v_add_f32_e32 v64, v64, v87
	v_fmac_f32_e32 v42, 0x3e9e377a, v35
	v_fmac_f32_e32 v39, 0x3e9e377a, v35
	v_add_f32_e32 v35, v44, v63
	v_add_f32_e32 v64, v64, v90
	;; [unrolled: 1-line block ×3, first 2 shown]
	v_fmac_f32_e32 v13, -0.5, v35
	v_add_u32_e32 v58, 0x200, v50
	v_add_f32_e32 v22, v22, v41
	v_mov_b32_e32 v43, v13
	ds_write2_b32 v50, v64, v72 offset1:55
	ds_write2_b32 v50, v75, v4 offset0:110 offset1:165
	ds_write2_b32 v58, v65, v18 offset0:92 offset1:147
	;; [unrolled: 1-line block ×4, first 2 shown]
	v_add_u32_e32 v14, 0x800, v6
	v_add_u32_e32 v18, 0xc00, v15
	v_add_f32_e32 v26, v26, v60
	v_fmac_f32_e32 v43, 0xbf737871, v33
	v_sub_f32_e32 v35, v59, v44
	v_sub_f32_e32 v36, v61, v63
	v_fmac_f32_e32 v13, 0x3f737871, v33
	ds_write2_b32 v14, v19, v23 offset0:38 offset1:93
	ds_write2_b32 v14, v25, v5 offset0:148 offset1:203
	ds_write_b32 v6, v21 offset:3080
	ds_write2_b32 v18, v22, v28 offset0:57 offset1:112
	ds_write2_b32 v18, v30, v8 offset0:167 offset1:222
	ds_write_b32 v15, v24 offset:4180
	v_lshl_add_u32 v8, v17, 2, 0
	v_add_f32_e32 v26, v26, v62
	v_fmac_f32_e32 v43, 0x3f167918, v31
	v_add_f32_e32 v35, v35, v36
	v_fmac_f32_e32 v13, 0xbf167918, v31
	v_add_u32_e32 v17, 0x1000, v8
	v_fmac_f32_e32 v43, 0x3e9e377a, v35
	v_fmac_f32_e32 v13, 0x3e9e377a, v35
	ds_write2_b32 v17, v26, v32 offset0:76 offset1:131
	ds_write2_b32 v17, v34, v9 offset0:186 offset1:241
	ds_write_b32 v8, v29 offset:5280
	s_waitcnt lgkmcnt(0)
	; wave barrier
	s_waitcnt lgkmcnt(0)
	ds_read2_b32 v[21:22], v50 offset1:110
	ds_read2_b32 v[33:34], v51 offset0:19 offset1:74
	ds_read2_b32 v[31:32], v48 offset0:111 offset1:166
	;; [unrolled: 1-line block ×4, first 2 shown]
	ds_read_b32 v19, v20
	ds_read2_b32 v[44:45], v49 offset0:93 offset1:148
	ds_read2_b32 v[40:41], v47 offset0:131 offset1:186
	;; [unrolled: 1-line block ×7, first 2 shown]
	s_waitcnt lgkmcnt(0)
	; wave barrier
	s_waitcnt lgkmcnt(0)
	ds_write2_b32 v50, v66, v76 offset1:55
	ds_write2_b32 v50, v77, v10 offset0:110 offset1:165
	ds_write2_b32 v58, v73, v55 offset0:92 offset1:147
	;; [unrolled: 1-line block ×6, first 2 shown]
	ds_write_b32 v6, v81 offset:3080
	ds_write2_b32 v18, v83, v85 offset0:57 offset1:112
	ds_write2_b32 v18, v37, v12 offset0:167 offset1:222
	ds_write_b32 v15, v84 offset:4180
	ds_write2_b32 v17, v38, v42 offset0:76 offset1:131
	ds_write2_b32 v17, v43, v13 offset0:186 offset1:241
	ds_write_b32 v8, v39 offset:5280
	s_waitcnt lgkmcnt(0)
	; wave barrier
	s_waitcnt lgkmcnt(0)
	s_and_saveexec_b64 s[0:1], vcc
	s_cbranch_execz .LBB0_21
; %bb.20:
	v_lshlrev_b32_e32 v6, 2, v53
	v_lshlrev_b64 v[8:9], 3, v[6:7]
	v_mov_b32_e32 v51, s9
	v_add_co_u32_e32 v8, vcc, s8, v8
	v_addc_co_u32_e32 v9, vcc, v51, v9, vcc
	global_load_dwordx4 v[10:13], v[8:9], off offset:2112
	global_load_dwordx4 v[14:17], v[8:9], off offset:2128
	v_add_u32_e32 v6, 0x600, v50
	v_add_u32_e32 v18, 0xa00, v50
	;; [unrolled: 1-line block ×4, first 2 shown]
	ds_read2_b32 v[8:9], v50 offset0:165 offset1:220
	ds_read2_b32 v[38:39], v6 offset0:111 offset1:166
	ds_read2_b32 v[27:28], v18 offset0:75 offset1:130
	ds_read2_b32 v[75:76], v37 offset0:113 offset1:168
	ds_read2_b32 v[42:43], v67 offset0:21 offset1:76
	v_lshlrev_b32_e32 v6, 2, v54
	v_lshlrev_b64 v[55:56], 3, v[6:7]
	v_add_u32_e32 v83, 0xc00, v50
	v_add_co_u32_e32 v63, vcc, s8, v55
	v_addc_co_u32_e32 v64, vcc, v51, v56, vcc
	global_load_dwordx4 v[55:58], v[63:64], off offset:2128
	global_load_dwordx4 v[59:62], v[63:64], off offset:2112
	s_waitcnt vmcnt(3)
	v_mul_f32_e32 v6, v31, v11
	v_mul_f32_e32 v18, v26, v13
	s_waitcnt vmcnt(2)
	v_mul_f32_e32 v37, v24, v17
	s_waitcnt lgkmcnt(3)
	v_mul_f32_e32 v64, v38, v11
	s_waitcnt lgkmcnt(1)
	v_mul_f32_e32 v17, v76, v17
	v_mul_f32_e32 v65, v28, v13
	s_waitcnt lgkmcnt(0)
	v_mul_f32_e32 v66, v42, v15
	v_mul_f32_e32 v63, v35, v15
	v_fma_f32 v6, v38, v10, -v6
	v_fma_f32 v18, v28, v12, -v18
	;; [unrolled: 1-line block ×3, first 2 shown]
	v_fmac_f32_e32 v64, v31, v10
	v_fmac_f32_e32 v17, v24, v16
	;; [unrolled: 1-line block ×4, first 2 shown]
	v_fma_f32 v37, v42, v14, -v63
	v_sub_f32_e32 v10, v6, v18
	v_sub_f32_e32 v13, v64, v65
	;; [unrolled: 1-line block ×5, first 2 shown]
	v_add_f32_e32 v63, v6, v28
	v_add_f32_e32 v6, v6, v9
	v_add_f32_e32 v12, v18, v37
	v_add_f32_e32 v15, v65, v66
	v_add_f32_e32 v73, v64, v17
	v_add_f32_e32 v76, v13, v14
	v_fma_f32 v14, -0.5, v63, v9
	v_add_f32_e32 v6, v18, v6
	v_sub_f32_e32 v11, v28, v37
	v_sub_f32_e32 v26, v65, v66
	v_fma_f32 v16, -0.5, v12, v9
	v_fma_f32 v15, -0.5, v15, v5
	;; [unrolled: 1-line block ×3, first 2 shown]
	v_mov_b32_e32 v12, v14
	v_add_f32_e32 v6, v37, v6
	v_add_f32_e32 v5, v5, v64
	v_sub_f32_e32 v24, v64, v17
	v_sub_f32_e32 v35, v18, v37
	v_add_f32_e32 v74, v10, v11
	v_mov_b32_e32 v10, v16
	v_fmac_f32_e32 v14, 0xbf737871, v26
	v_fmac_f32_e32 v12, 0x3f737871, v26
	v_add_f32_e32 v18, v28, v6
	v_add_f32_e32 v5, v5, v65
	v_lshlrev_b32_e32 v6, 2, v52
	v_fmac_f32_e32 v16, 0x3f737871, v24
	v_fmac_f32_e32 v10, 0xbf737871, v24
	;; [unrolled: 1-line block ×4, first 2 shown]
	v_add_f32_e32 v24, v5, v66
	v_lshlrev_b64 v[5:6], 3, v[6:7]
	v_mov_b32_e32 v9, v15
	v_mov_b32_e32 v11, v13
	v_fmac_f32_e32 v13, 0x3f737871, v35
	v_fmac_f32_e32 v9, 0x3f737871, v31
	;; [unrolled: 1-line block ×4, first 2 shown]
	v_add_co_u32_e32 v5, vcc, s8, v5
	v_sub_f32_e32 v42, v37, v28
	v_sub_f32_e32 v71, v65, v64
	;; [unrolled: 1-line block ×3, first 2 shown]
	v_fmac_f32_e32 v13, 0xbf167918, v31
	v_fmac_f32_e32 v16, 0x3f167918, v26
	;; [unrolled: 1-line block ×6, first 2 shown]
	v_add_u32_e32 v31, 0x400, v50
	v_addc_co_u32_e32 v6, vcc, v51, v6, vcc
	v_add_f32_e32 v38, v38, v42
	v_add_f32_e32 v42, v71, v72
	v_fmac_f32_e32 v16, 0x3e9e377a, v74
	v_fmac_f32_e32 v10, 0x3e9e377a, v74
	;; [unrolled: 1-line block ×4, first 2 shown]
	ds_read2_b32 v[76:77], v31 offset0:129 offset1:184
	global_load_dwordx4 v[63:66], v[5:6], off offset:2128
	global_load_dwordx4 v[71:74], v[5:6], off offset:2112
	s_waitcnt vmcnt(2)
	v_mul_f32_e32 v5, v49, v60
	v_mul_f32_e32 v28, v23, v58
	v_fmac_f32_e32 v13, 0x3e9e377a, v42
	s_waitcnt lgkmcnt(0)
	v_fma_f32 v26, v77, v59, -v5
	v_mul_f32_e32 v5, v25, v62
	v_fma_f32 v35, v27, v61, -v5
	ds_read2_b32 v[5:6], v83 offset0:167 offset1:222
	v_fmac_f32_e32 v11, 0x3e9e377a, v42
	v_fma_f32 v42, v75, v57, -v28
	v_mul_f32_e32 v28, v47, v56
	v_add_f32_e32 v37, v26, v8
	s_waitcnt lgkmcnt(0)
	v_fma_f32 v78, v6, v55, -v28
	v_mul_f32_e32 v6, v6, v56
	v_fmac_f32_e32 v6, v47, v55
	v_mul_f32_e32 v47, v77, v60
	v_fmac_f32_e32 v47, v49, v59
	v_mul_f32_e32 v49, v75, v58
	v_add_f32_e32 v17, v17, v24
	v_sub_f32_e32 v24, v26, v35
	v_sub_f32_e32 v28, v42, v78
	v_fmac_f32_e32 v49, v23, v57
	v_add_f32_e32 v23, v35, v78
	v_add_f32_e32 v37, v35, v37
	v_add_f32_e32 v79, v24, v28
	v_mul_f32_e32 v62, v27, v62
	v_fma_f32 v24, -0.5, v23, v8
	v_sub_f32_e32 v57, v26, v42
	v_sub_f32_e32 v58, v35, v78
	v_add_f32_e32 v37, v78, v37
	v_sub_f32_e32 v35, v35, v26
	v_add_f32_e32 v26, v26, v42
	v_fmac_f32_e32 v14, 0x3e9e377a, v38
	v_fmac_f32_e32 v12, 0x3e9e377a, v38
	;; [unrolled: 1-line block ×3, first 2 shown]
	v_sub_f32_e32 v55, v47, v49
	v_mov_b32_e32 v28, v24
	v_add_f32_e32 v38, v42, v37
	v_add_f32_e32 v37, v4, v47
	v_fmac_f32_e32 v8, -0.5, v26
	v_sub_f32_e32 v25, v62, v6
	v_fmac_f32_e32 v28, 0x3f737871, v55
	v_sub_f32_e32 v23, v47, v62
	v_sub_f32_e32 v27, v49, v6
	v_add_f32_e32 v37, v37, v62
	v_mov_b32_e32 v26, v8
	v_fmac_f32_e32 v24, 0xbf737871, v55
	v_fmac_f32_e32 v28, 0x3f167918, v25
	v_add_f32_e32 v56, v23, v27
	v_add_f32_e32 v23, v62, v6
	;; [unrolled: 1-line block ×3, first 2 shown]
	v_fmac_f32_e32 v26, 0x3f737871, v25
	v_fmac_f32_e32 v8, 0xbf737871, v25
	;; [unrolled: 1-line block ×3, first 2 shown]
	v_sub_f32_e32 v25, v62, v47
	v_sub_f32_e32 v6, v6, v49
	v_add_f32_e32 v6, v25, v6
	v_add_f32_e32 v25, v47, v49
	v_fma_f32 v23, -0.5, v23, v4
	v_fmac_f32_e32 v4, -0.5, v25
	v_mov_b32_e32 v25, v4
	v_fmac_f32_e32 v25, 0xbf737871, v58
	v_fmac_f32_e32 v4, 0x3f737871, v58
	v_sub_f32_e32 v59, v78, v42
	v_fmac_f32_e32 v25, 0x3f167918, v57
	v_fmac_f32_e32 v4, 0xbf167918, v57
	v_add_f32_e32 v35, v35, v59
	v_fmac_f32_e32 v26, 0xbf167918, v55
	v_fmac_f32_e32 v8, 0x3f167918, v55
	;; [unrolled: 1-line block ×6, first 2 shown]
	v_mov_b32_e32 v27, v23
	v_fmac_f32_e32 v27, 0xbf737871, v57
	v_fmac_f32_e32 v23, 0x3f737871, v57
	;; [unrolled: 1-line block ×6, first 2 shown]
	s_waitcnt vmcnt(0)
	v_mul_f32_e32 v6, v48, v72
	v_fma_f32 v35, v76, v71, -v6
	v_add_u32_e32 v6, 0x800, v50
	ds_read2_b32 v[77:78], v6 offset0:93 offset1:148
	v_lshlrev_b32_e32 v6, 2, v70
	v_lshlrev_b64 v[6:7], 3, v[6:7]
	v_fmac_f32_e32 v28, 0x3e9e377a, v79
	v_add_co_u32_e32 v6, vcc, s8, v6
	v_addc_co_u32_e32 v7, vcc, v51, v7, vcc
	global_load_dwordx4 v[55:58], v[6:7], off offset:2112
	global_load_dwordx4 v[59:62], v[6:7], off offset:2128
	v_fmac_f32_e32 v24, 0x3e9e377a, v79
	ds_read2_b32 v[79:80], v67 offset0:131 offset1:186
	v_mul_f32_e32 v42, v41, v66
	v_mul_f32_e32 v70, v76, v72
	v_mul_f32_e32 v6, v45, v74
	ds_read2_b32 v[81:82], v50 offset1:110
	s_waitcnt lgkmcnt(1)
	v_mul_f32_e32 v76, v80, v66
	v_mul_f32_e32 v66, v78, v74
	v_fma_f32 v51, v80, v65, -v42
	v_mul_f32_e32 v42, v46, v64
	v_fmac_f32_e32 v66, v45, v73
	v_mul_f32_e32 v45, v5, v64
	v_fma_f32 v7, v78, v73, -v6
	v_fma_f32 v50, v5, v63, -v42
	v_fmac_f32_e32 v70, v48, v71
	v_fmac_f32_e32 v76, v41, v65
	;; [unrolled: 1-line block ×3, first 2 shown]
	v_sub_f32_e32 v6, v35, v7
	v_sub_f32_e32 v42, v51, v50
	;; [unrolled: 1-line block ×4, first 2 shown]
	v_add_f32_e32 v67, v6, v42
	v_add_f32_e32 v64, v5, v41
	v_sub_f32_e32 v41, v7, v35
	v_sub_f32_e32 v42, v50, v51
	v_add_f32_e32 v73, v41, v42
	v_add_f32_e32 v41, v35, v51
	;; [unrolled: 1-line block ×3, first 2 shown]
	s_waitcnt lgkmcnt(0)
	v_fma_f32 v49, -0.5, v41, v82
	v_sub_f32_e32 v41, v66, v70
	v_sub_f32_e32 v48, v45, v76
	v_add_f32_e32 v5, v66, v45
	v_add_f32_e32 v74, v41, v48
	;; [unrolled: 1-line block ×4, first 2 shown]
	v_fma_f32 v46, -0.5, v5, v22
	v_sub_f32_e32 v71, v35, v51
	v_fma_f32 v48, -0.5, v41, v22
	v_add_f32_e32 v35, v35, v82
	v_fma_f32 v47, -0.5, v6, v82
	v_sub_f32_e32 v63, v66, v45
	v_mov_b32_e32 v5, v46
	v_sub_f32_e32 v72, v7, v50
	v_mov_b32_e32 v42, v49
	v_mov_b32_e32 v41, v48
	v_add_f32_e32 v7, v7, v35
	v_sub_f32_e32 v65, v70, v76
	v_mov_b32_e32 v6, v47
	v_fmac_f32_e32 v5, 0x3f737871, v71
	v_fmac_f32_e32 v42, 0x3f737871, v63
	;; [unrolled: 1-line block ×6, first 2 shown]
	v_add_f32_e32 v7, v50, v7
	v_fmac_f32_e32 v6, 0xbf737871, v65
	v_fmac_f32_e32 v5, 0x3f167918, v72
	v_fmac_f32_e32 v42, 0xbf167918, v65
	v_fmac_f32_e32 v41, 0x3f167918, v71
	v_fmac_f32_e32 v49, 0x3f167918, v65
	v_fmac_f32_e32 v48, 0xbf167918, v71
	v_fmac_f32_e32 v47, 0x3f737871, v65
	v_fmac_f32_e32 v46, 0xbf167918, v72
	v_add_f32_e32 v51, v51, v7
	v_add_f32_e32 v7, v22, v70
	v_fmac_f32_e32 v6, 0xbf167918, v63
	v_fmac_f32_e32 v5, 0x3e9e377a, v64
	;; [unrolled: 1-line block ×8, first 2 shown]
	v_add_f32_e32 v7, v7, v66
	ds_read2_b32 v[74:75], v83 offset0:57 offset1:112
	global_load_dwordx4 v[63:66], v[2:3], off offset:2128
	global_load_dwordx4 v[70:73], v[2:3], off offset:2112
	v_add_f32_e32 v7, v7, v45
	v_add_f32_e32 v50, v76, v7
	v_fmac_f32_e32 v6, 0x3e9e377a, v67
	s_waitcnt vmcnt(2)
	v_mul_f32_e32 v2, v40, v62
	v_fma_f32 v7, v79, v61, -v2
	v_mul_f32_e32 v2, v30, v60
	s_waitcnt lgkmcnt(0)
	v_fma_f32 v22, v75, v59, -v2
	ds_read2_b32 v[2:3], v31 offset0:19 offset1:74
	ds_read_b32 v20, v20
	v_mul_f32_e32 v31, v44, v58
	v_fmac_f32_e32 v47, 0x3e9e377a, v67
	v_fma_f32 v67, v77, v57, -v31
	v_mul_f32_e32 v31, v34, v56
	s_waitcnt lgkmcnt(1)
	v_fma_f32 v76, v3, v55, -v31
	v_mul_f32_e32 v3, v3, v56
	v_fmac_f32_e32 v3, v34, v55
	v_mul_f32_e32 v55, v77, v58
	v_add_f32_e32 v34, v19, v3
	v_fmac_f32_e32 v55, v44, v57
	v_mul_f32_e32 v57, v75, v60
	v_add_f32_e32 v34, v55, v34
	v_fmac_f32_e32 v57, v30, v59
	v_add_f32_e32 v30, v57, v34
	v_sub_f32_e32 v34, v67, v76
	v_sub_f32_e32 v35, v22, v7
	v_add_f32_e32 v34, v35, v34
	v_add_f32_e32 v35, v7, v76
	v_mul_f32_e32 v58, v79, v62
	s_waitcnt lgkmcnt(0)
	v_fma_f32 v35, -0.5, v35, v20
	v_fmac_f32_e32 v58, v40, v61
	v_sub_f32_e32 v40, v55, v57
	v_mov_b32_e32 v45, v35
	v_fmac_f32_e32 v45, 0x3f737871, v40
	v_sub_f32_e32 v44, v3, v58
	v_fmac_f32_e32 v35, 0xbf737871, v40
	v_fmac_f32_e32 v45, 0xbf167918, v44
	;; [unrolled: 1-line block ×5, first 2 shown]
	v_sub_f32_e32 v34, v76, v67
	v_sub_f32_e32 v56, v7, v22
	v_add_f32_e32 v34, v56, v34
	v_add_f32_e32 v56, v22, v67
	;; [unrolled: 1-line block ×3, first 2 shown]
	v_fmac_f32_e32 v20, -0.5, v56
	v_mov_b32_e32 v56, v20
	v_fmac_f32_e32 v56, 0xbf737871, v44
	v_fmac_f32_e32 v20, 0x3f737871, v44
	;; [unrolled: 1-line block ×6, first 2 shown]
	v_sub_f32_e32 v34, v55, v3
	v_sub_f32_e32 v40, v57, v58
	v_add_f32_e32 v40, v40, v34
	v_add_f32_e32 v34, v58, v3
	;; [unrolled: 1-line block ×3, first 2 shown]
	v_fma_f32 v34, -0.5, v34, v19
	v_add_f32_e32 v31, v22, v31
	v_sub_f32_e32 v22, v67, v22
	v_mov_b32_e32 v44, v34
	v_add_f32_e32 v31, v7, v31
	v_sub_f32_e32 v7, v76, v7
	v_fmac_f32_e32 v44, 0xbf737871, v22
	v_fmac_f32_e32 v34, 0x3f737871, v22
	;; [unrolled: 1-line block ×6, first 2 shown]
	v_sub_f32_e32 v3, v3, v55
	v_sub_f32_e32 v40, v58, v57
	v_add_f32_e32 v3, v40, v3
	v_add_f32_e32 v40, v57, v55
	v_fmac_f32_e32 v19, -0.5, v40
	v_mov_b32_e32 v55, v19
	v_fmac_f32_e32 v55, 0x3f737871, v7
	v_fmac_f32_e32 v19, 0xbf737871, v7
	;; [unrolled: 1-line block ×4, first 2 shown]
	s_waitcnt vmcnt(1)
	v_mul_f32_e32 v40, v36, v66
	v_fmac_f32_e32 v55, 0x3e9e377a, v3
	v_fmac_f32_e32 v19, 0x3e9e377a, v3
	s_waitcnt vmcnt(0)
	v_mul_f32_e32 v3, v33, v71
	v_fma_f32 v61, v43, v65, -v40
	v_mul_f32_e32 v43, v43, v66
	v_fma_f32 v7, v2, v70, -v3
	v_mul_f32_e32 v3, v32, v73
	v_mul_f32_e32 v40, v29, v64
	;; [unrolled: 1-line block ×3, first 2 shown]
	v_fmac_f32_e32 v43, v36, v65
	v_mul_f32_e32 v65, v39, v73
	v_mul_f32_e32 v64, v74, v64
	v_fma_f32 v22, v39, v72, -v3
	v_fma_f32 v62, v74, v63, -v40
	v_fmac_f32_e32 v67, v33, v70
	v_fmac_f32_e32 v65, v32, v72
	;; [unrolled: 1-line block ×3, first 2 shown]
	v_sub_f32_e32 v3, v7, v22
	v_sub_f32_e32 v40, v61, v62
	;; [unrolled: 1-line block ×4, first 2 shown]
	v_add_f32_e32 v59, v3, v40
	v_add_f32_e32 v3, v22, v62
	;; [unrolled: 1-line block ×4, first 2 shown]
	v_fma_f32 v3, -0.5, v3, v81
	v_fma_f32 v2, -0.5, v2, v21
	v_sub_f32_e32 v36, v67, v43
	v_mov_b32_e32 v33, v3
	v_sub_f32_e32 v63, v7, v61
	v_mov_b32_e32 v32, v2
	v_fmac_f32_e32 v33, 0xbf737871, v36
	v_sub_f32_e32 v29, v65, v64
	v_fmac_f32_e32 v32, 0x3f737871, v63
	v_sub_f32_e32 v66, v22, v62
	v_fmac_f32_e32 v3, 0x3f737871, v36
	v_fmac_f32_e32 v2, 0xbf737871, v63
	;; [unrolled: 1-line block ×8, first 2 shown]
	v_sub_f32_e32 v39, v22, v7
	v_sub_f32_e32 v40, v62, v61
	v_fmac_f32_e32 v3, 0x3e9e377a, v59
	v_fmac_f32_e32 v2, 0x3e9e377a, v60
	v_mad_u64_u32 v[59:60], s[0:1], s2, v68, 0
	v_add_f32_e32 v70, v39, v40
	v_add_f32_e32 v39, v7, v61
	;; [unrolled: 1-line block ×4, first 2 shown]
	v_fma_f32 v40, -0.5, v39, v81
	v_sub_f32_e32 v39, v65, v67
	v_sub_f32_e32 v57, v64, v43
	v_add_f32_e32 v7, v62, v7
	v_add_f32_e32 v71, v39, v57
	;; [unrolled: 1-line block ×4, first 2 shown]
	v_mov_b32_e32 v7, v60
	v_fma_f32 v39, -0.5, v39, v21
	v_add_f32_e32 v21, v21, v67
	v_mad_u64_u32 v[60:61], s[0:1], s3, v68, v[7:8]
	v_add_f32_e32 v30, v58, v30
	v_mov_b32_e32 v58, v40
	v_add_f32_e32 v7, v21, v65
	v_fmac_f32_e32 v58, 0x3f737871, v29
	v_fmac_f32_e32 v40, 0xbf737871, v29
	v_add_f32_e32 v7, v7, v64
	v_fmac_f32_e32 v58, 0xbf167918, v36
	v_fmac_f32_e32 v40, 0x3f167918, v36
	v_add_f32_e32 v21, v43, v7
	v_mov_b32_e32 v7, s13
	v_add_co_u32_e32 v36, vcc, s12, v0
	v_add_u32_e32 v29, 0x113, v68
	v_addc_co_u32_e32 v43, vcc, v7, v1, vcc
	v_lshlrev_b64 v[0:1], 3, v[59:60]
	v_mad_u64_u32 v[59:60], s[0:1], s2, v29, 0
	v_add_co_u32_e32 v0, vcc, v36, v0
	v_mov_b32_e32 v7, v60
	v_mad_u64_u32 v[60:61], s[0:1], s3, v29, v[7:8]
	v_add_u32_e32 v29, 0x226, v68
	v_mad_u64_u32 v[61:62], s[0:1], s2, v29, 0
	v_addc_co_u32_e32 v1, vcc, v43, v1, vcc
	global_store_dwordx2 v[0:1], v[21:22], off
	v_lshlrev_b64 v[0:1], 3, v[59:60]
	v_mov_b32_e32 v7, v62
	v_add_co_u32_e32 v0, vcc, v36, v0
	v_mad_u64_u32 v[21:22], s[0:1], s3, v29, v[7:8]
	v_addc_co_u32_e32 v1, vcc, v43, v1, vcc
	v_add_u32_e32 v7, 0x339, v68
	global_store_dwordx2 v[0:1], v[2:3], off
	v_mad_u64_u32 v[2:3], s[0:1], s2, v7, 0
	v_mov_b32_e32 v62, v21
	v_lshlrev_b64 v[0:1], 3, v[61:62]
	v_mad_u64_u32 v[21:22], s[0:1], s3, v7, v[3:4]
	v_add_u32_e32 v7, 0x44c, v68
	v_mad_u64_u32 v[59:60], s[0:1], s2, v7, 0
	v_mov_b32_e32 v57, v39
	v_fmac_f32_e32 v39, 0x3f737871, v66
	v_fmac_f32_e32 v39, 0xbf167918, v63
	v_add_co_u32_e32 v0, vcc, v36, v0
	v_fmac_f32_e32 v40, 0x3e9e377a, v70
	v_fmac_f32_e32 v39, 0x3e9e377a, v71
	v_addc_co_u32_e32 v1, vcc, v43, v1, vcc
	v_mov_b32_e32 v3, v21
	global_store_dwordx2 v[0:1], v[39:40], off
	v_lshlrev_b64 v[0:1], 3, v[2:3]
	v_mov_b32_e32 v2, v60
	v_mad_u64_u32 v[2:3], s[0:1], s3, v7, v[2:3]
	v_fmac_f32_e32 v57, 0xbf737871, v66
	v_fmac_f32_e32 v57, 0x3f167918, v63
	v_mov_b32_e32 v60, v2
	v_mad_u64_u32 v[2:3], s[4:5], s2, v69, 0
	v_add_co_u32_e32 v0, vcc, v36, v0
	v_fmac_f32_e32 v58, 0x3e9e377a, v70
	v_fmac_f32_e32 v57, 0x3e9e377a, v71
	v_addc_co_u32_e32 v1, vcc, v43, v1, vcc
	v_mad_u64_u32 v[21:22], s[4:5], s3, v69, v[3:4]
	v_add_u32_e32 v7, 0x14a, v68
	global_store_dwordx2 v[0:1], v[57:58], off
	v_lshlrev_b64 v[0:1], 3, v[59:60]
	v_mad_u64_u32 v[39:40], s[4:5], s2, v7, 0
	v_add_co_u32_e32 v0, vcc, v36, v0
	v_addc_co_u32_e32 v1, vcc, v43, v1, vcc
	v_mov_b32_e32 v3, v21
	global_store_dwordx2 v[0:1], v[32:33], off
	v_lshlrev_b64 v[0:1], 3, v[2:3]
	v_mov_b32_e32 v2, v40
	v_mad_u64_u32 v[2:3], s[4:5], s3, v7, v[2:3]
	v_add_u32_e32 v7, 0x25d, v68
	v_add_co_u32_e32 v0, vcc, v36, v0
	v_mov_b32_e32 v40, v2
	v_mad_u64_u32 v[2:3], s[4:5], s2, v7, 0
	v_addc_co_u32_e32 v1, vcc, v43, v1, vcc
	v_mad_u64_u32 v[21:22], s[4:5], s3, v7, v[3:4]
	v_add_u32_e32 v7, 0x370, v68
	global_store_dwordx2 v[0:1], v[30:31], off
	v_lshlrev_b64 v[0:1], 3, v[39:40]
	v_mad_u64_u32 v[29:30], s[4:5], s2, v7, 0
	v_add_co_u32_e32 v0, vcc, v36, v0
	v_addc_co_u32_e32 v1, vcc, v43, v1, vcc
	v_mov_b32_e32 v3, v21
	global_store_dwordx2 v[0:1], v[19:20], off
	v_lshlrev_b64 v[0:1], 3, v[2:3]
	v_mov_b32_e32 v2, v30
	v_mad_u64_u32 v[2:3], s[4:5], s3, v7, v[2:3]
	v_add_u32_e32 v7, 0x483, v68
	v_add_co_u32_e32 v0, vcc, v36, v0
	v_mov_b32_e32 v30, v2
	v_mad_u64_u32 v[2:3], s[4:5], s2, v7, 0
	v_addc_co_u32_e32 v1, vcc, v43, v1, vcc
	v_mad_u64_u32 v[19:20], s[4:5], s3, v7, v[3:4]
	global_store_dwordx2 v[0:1], v[34:35], off
	v_lshlrev_b64 v[0:1], 3, v[29:30]
	v_mad_u64_u32 v[20:21], s[4:5], s2, v52, 0
	v_add_co_u32_e32 v0, vcc, v36, v0
	v_addc_co_u32_e32 v1, vcc, v43, v1, vcc
	v_mov_b32_e32 v3, v19
	global_store_dwordx2 v[0:1], v[44:45], off
	v_lshlrev_b64 v[0:1], 3, v[2:3]
	v_mov_b32_e32 v2, v21
	v_mad_u64_u32 v[2:3], s[4:5], s3, v52, v[2:3]
	v_add_u32_e32 v7, 0x181, v68
	v_add_co_u32_e32 v0, vcc, v36, v0
	v_mov_b32_e32 v21, v2
	v_mad_u64_u32 v[2:3], s[4:5], s2, v7, 0
	v_addc_co_u32_e32 v1, vcc, v43, v1, vcc
	global_store_dwordx2 v[0:1], v[55:56], off
	v_lshlrev_b64 v[0:1], 3, v[20:21]
	v_mad_u64_u32 v[19:20], s[4:5], s3, v7, v[3:4]
	v_add_u32_e32 v7, 0x294, v68
	v_mad_u64_u32 v[20:21], s[4:5], s2, v7, 0
	v_add_co_u32_e32 v0, vcc, v36, v0
	v_addc_co_u32_e32 v1, vcc, v43, v1, vcc
	v_mov_b32_e32 v3, v19
	global_store_dwordx2 v[0:1], v[50:51], off
	v_lshlrev_b64 v[0:1], 3, v[2:3]
	v_mov_b32_e32 v2, v21
	v_mad_u64_u32 v[2:3], s[4:5], s3, v7, v[2:3]
	v_add_u32_e32 v7, 0x3a7, v68
	v_add_co_u32_e32 v0, vcc, v36, v0
	v_mov_b32_e32 v21, v2
	v_mad_u64_u32 v[2:3], s[4:5], s2, v7, 0
	v_addc_co_u32_e32 v1, vcc, v43, v1, vcc
	global_store_dwordx2 v[0:1], v[46:47], off
	v_lshlrev_b64 v[0:1], 3, v[20:21]
	v_mad_u64_u32 v[19:20], s[4:5], s3, v7, v[3:4]
	v_add_u32_e32 v7, 0x4ba, v68
	v_mad_u64_u32 v[20:21], s[4:5], s2, v7, 0
	v_add_co_u32_e32 v0, vcc, v36, v0
	v_addc_co_u32_e32 v1, vcc, v43, v1, vcc
	v_mov_b32_e32 v3, v19
	global_store_dwordx2 v[0:1], v[48:49], off
	v_lshlrev_b64 v[0:1], 3, v[2:3]
	v_mov_b32_e32 v2, v21
	v_mad_u64_u32 v[2:3], s[4:5], s3, v7, v[2:3]
	v_add_co_u32_e32 v0, vcc, v36, v0
	v_mov_b32_e32 v21, v2
	v_mad_u64_u32 v[2:3], s[4:5], s2, v54, 0
	v_addc_co_u32_e32 v1, vcc, v43, v1, vcc
	global_store_dwordx2 v[0:1], v[41:42], off
	v_lshlrev_b64 v[0:1], 3, v[20:21]
	v_mad_u64_u32 v[19:20], s[4:5], s3, v54, v[3:4]
	v_add_u32_e32 v7, 0x1b8, v68
	v_mad_u64_u32 v[20:21], s[4:5], s2, v7, 0
	v_add_co_u32_e32 v0, vcc, v36, v0
	v_addc_co_u32_e32 v1, vcc, v43, v1, vcc
	v_mov_b32_e32 v3, v19
	global_store_dwordx2 v[0:1], v[5:6], off
	v_lshlrev_b64 v[0:1], 3, v[2:3]
	v_mov_b32_e32 v2, v21
	v_mad_u64_u32 v[2:3], s[4:5], s3, v7, v[2:3]
	v_add_u32_e32 v5, 0x2cb, v68
	v_add_co_u32_e32 v0, vcc, v36, v0
	v_mov_b32_e32 v21, v2
	v_mad_u64_u32 v[2:3], s[4:5], s2, v5, 0
	v_addc_co_u32_e32 v1, vcc, v43, v1, vcc
	v_mad_u64_u32 v[5:6], s[4:5], s3, v5, v[3:4]
	v_add_u32_e32 v19, 0x3de, v68
	global_store_dwordx2 v[0:1], v[37:38], off
	v_lshlrev_b64 v[0:1], 3, v[20:21]
	v_mad_u64_u32 v[6:7], s[4:5], s2, v19, 0
	v_add_co_u32_e32 v0, vcc, v36, v0
	v_addc_co_u32_e32 v1, vcc, v43, v1, vcc
	v_mov_b32_e32 v3, v5
	global_store_dwordx2 v[0:1], v[27:28], off
	v_lshlrev_b64 v[0:1], 3, v[2:3]
	v_mov_b32_e32 v2, v7
	v_mad_u64_u32 v[2:3], s[4:5], s3, v19, v[2:3]
	v_add_co_u32_e32 v0, vcc, v36, v0
	v_addc_co_u32_e32 v1, vcc, v43, v1, vcc
	v_mov_b32_e32 v5, v8
	global_store_dwordx2 v[0:1], v[4:5], off
	v_add_u32_e32 v4, 0x4f1, v68
	v_mov_b32_e32 v7, v2
	v_mad_u64_u32 v[2:3], s[4:5], s2, v4, 0
	s_mov_b32 s1, 0xdca01dcb
	v_mul_hi_u32 v5, v53, s1
	v_mad_u64_u32 v[3:4], s[4:5], s3, v4, v[3:4]
	s_movk_i32 s0, 0x44c
	v_sub_u32_e32 v4, v53, v5
	v_lshrrev_b32_e32 v4, 1, v4
	v_add_u32_e32 v4, v4, v5
	v_lshrrev_b32_e32 v4, 8, v4
	v_lshlrev_b64 v[0:1], 3, v[6:7]
	v_mad_u32_u24 v6, v4, s0, v53
	v_mad_u64_u32 v[4:5], s[0:1], s2, v6, 0
	v_add_co_u32_e32 v0, vcc, v36, v0
	v_addc_co_u32_e32 v1, vcc, v43, v1, vcc
	global_store_dwordx2 v[0:1], v[25:26], off
	v_lshlrev_b64 v[0:1], 3, v[2:3]
	v_mov_b32_e32 v2, v5
	v_mad_u64_u32 v[2:3], s[0:1], s3, v6, v[2:3]
	v_add_co_u32_e32 v0, vcc, v36, v0
	v_addc_co_u32_e32 v1, vcc, v43, v1, vcc
	v_mov_b32_e32 v5, v2
	global_store_dwordx2 v[0:1], v[23:24], off
	v_lshlrev_b64 v[0:1], 3, v[4:5]
	v_add_u32_e32 v4, 0x113, v6
	v_mad_u64_u32 v[2:3], s[0:1], s2, v4, 0
	v_add_u32_e32 v7, 0x226, v6
	v_add_co_u32_e32 v0, vcc, v36, v0
	v_mad_u64_u32 v[3:4], s[0:1], s3, v4, v[3:4]
	v_mad_u64_u32 v[4:5], s[0:1], s2, v7, 0
	v_addc_co_u32_e32 v1, vcc, v43, v1, vcc
	global_store_dwordx2 v[0:1], v[17:18], off
	v_lshlrev_b64 v[0:1], 3, v[2:3]
	v_mov_b32_e32 v2, v5
	v_mad_u64_u32 v[2:3], s[0:1], s3, v7, v[2:3]
	v_add_co_u32_e32 v0, vcc, v36, v0
	v_addc_co_u32_e32 v1, vcc, v43, v1, vcc
	v_mov_b32_e32 v5, v2
	global_store_dwordx2 v[0:1], v[15:16], off
	v_lshlrev_b64 v[0:1], 3, v[4:5]
	v_add_u32_e32 v4, 0x339, v6
	v_mad_u64_u32 v[2:3], s[0:1], s2, v4, 0
	v_add_u32_e32 v6, 0x44c, v6
	v_add_co_u32_e32 v0, vcc, v36, v0
	v_mad_u64_u32 v[3:4], s[0:1], s3, v4, v[3:4]
	v_mad_u64_u32 v[4:5], s[0:1], s2, v6, 0
	v_addc_co_u32_e32 v1, vcc, v43, v1, vcc
	global_store_dwordx2 v[0:1], v[13:14], off
	v_lshlrev_b64 v[0:1], 3, v[2:3]
	v_mov_b32_e32 v2, v5
	v_mad_u64_u32 v[2:3], s[0:1], s3, v6, v[2:3]
	v_add_co_u32_e32 v0, vcc, v36, v0
	v_addc_co_u32_e32 v1, vcc, v43, v1, vcc
	v_mov_b32_e32 v5, v2
	global_store_dwordx2 v[0:1], v[11:12], off
	v_lshlrev_b64 v[0:1], 3, v[4:5]
	v_add_co_u32_e32 v0, vcc, v36, v0
	v_addc_co_u32_e32 v1, vcc, v43, v1, vcc
	global_store_dwordx2 v[0:1], v[9:10], off
.LBB0_21:
	s_endpgm
	.section	.rodata,"a",@progbits
	.p2align	6, 0x0
	.amdhsa_kernel fft_rtc_back_len1375_factors_11_5_5_5_wgs_55_tpt_55_halfLds_sp_ip_CI_sbrr_dirReg
		.amdhsa_group_segment_fixed_size 0
		.amdhsa_private_segment_fixed_size 0
		.amdhsa_kernarg_size 88
		.amdhsa_user_sgpr_count 6
		.amdhsa_user_sgpr_private_segment_buffer 1
		.amdhsa_user_sgpr_dispatch_ptr 0
		.amdhsa_user_sgpr_queue_ptr 0
		.amdhsa_user_sgpr_kernarg_segment_ptr 1
		.amdhsa_user_sgpr_dispatch_id 0
		.amdhsa_user_sgpr_flat_scratch_init 0
		.amdhsa_user_sgpr_private_segment_size 0
		.amdhsa_uses_dynamic_stack 0
		.amdhsa_system_sgpr_private_segment_wavefront_offset 0
		.amdhsa_system_sgpr_workgroup_id_x 1
		.amdhsa_system_sgpr_workgroup_id_y 0
		.amdhsa_system_sgpr_workgroup_id_z 0
		.amdhsa_system_sgpr_workgroup_info 0
		.amdhsa_system_vgpr_workitem_id 0
		.amdhsa_next_free_vgpr 123
		.amdhsa_next_free_sgpr 24
		.amdhsa_reserve_vcc 1
		.amdhsa_reserve_flat_scratch 0
		.amdhsa_float_round_mode_32 0
		.amdhsa_float_round_mode_16_64 0
		.amdhsa_float_denorm_mode_32 3
		.amdhsa_float_denorm_mode_16_64 3
		.amdhsa_dx10_clamp 1
		.amdhsa_ieee_mode 1
		.amdhsa_fp16_overflow 0
		.amdhsa_exception_fp_ieee_invalid_op 0
		.amdhsa_exception_fp_denorm_src 0
		.amdhsa_exception_fp_ieee_div_zero 0
		.amdhsa_exception_fp_ieee_overflow 0
		.amdhsa_exception_fp_ieee_underflow 0
		.amdhsa_exception_fp_ieee_inexact 0
		.amdhsa_exception_int_div_zero 0
	.end_amdhsa_kernel
	.text
.Lfunc_end0:
	.size	fft_rtc_back_len1375_factors_11_5_5_5_wgs_55_tpt_55_halfLds_sp_ip_CI_sbrr_dirReg, .Lfunc_end0-fft_rtc_back_len1375_factors_11_5_5_5_wgs_55_tpt_55_halfLds_sp_ip_CI_sbrr_dirReg
                                        ; -- End function
	.section	.AMDGPU.csdata,"",@progbits
; Kernel info:
; codeLenInByte = 19452
; NumSgprs: 28
; NumVgprs: 123
; ScratchSize: 0
; MemoryBound: 0
; FloatMode: 240
; IeeeMode: 1
; LDSByteSize: 0 bytes/workgroup (compile time only)
; SGPRBlocks: 3
; VGPRBlocks: 30
; NumSGPRsForWavesPerEU: 28
; NumVGPRsForWavesPerEU: 123
; Occupancy: 2
; WaveLimiterHint : 1
; COMPUTE_PGM_RSRC2:SCRATCH_EN: 0
; COMPUTE_PGM_RSRC2:USER_SGPR: 6
; COMPUTE_PGM_RSRC2:TRAP_HANDLER: 0
; COMPUTE_PGM_RSRC2:TGID_X_EN: 1
; COMPUTE_PGM_RSRC2:TGID_Y_EN: 0
; COMPUTE_PGM_RSRC2:TGID_Z_EN: 0
; COMPUTE_PGM_RSRC2:TIDIG_COMP_CNT: 0
	.type	__hip_cuid_2d08c796699bc067,@object ; @__hip_cuid_2d08c796699bc067
	.section	.bss,"aw",@nobits
	.globl	__hip_cuid_2d08c796699bc067
__hip_cuid_2d08c796699bc067:
	.byte	0                               ; 0x0
	.size	__hip_cuid_2d08c796699bc067, 1

	.ident	"AMD clang version 19.0.0git (https://github.com/RadeonOpenCompute/llvm-project roc-6.4.0 25133 c7fe45cf4b819c5991fe208aaa96edf142730f1d)"
	.section	".note.GNU-stack","",@progbits
	.addrsig
	.addrsig_sym __hip_cuid_2d08c796699bc067
	.amdgpu_metadata
---
amdhsa.kernels:
  - .args:
      - .actual_access:  read_only
        .address_space:  global
        .offset:         0
        .size:           8
        .value_kind:     global_buffer
      - .offset:         8
        .size:           8
        .value_kind:     by_value
      - .actual_access:  read_only
        .address_space:  global
        .offset:         16
        .size:           8
        .value_kind:     global_buffer
      - .actual_access:  read_only
        .address_space:  global
        .offset:         24
        .size:           8
        .value_kind:     global_buffer
      - .offset:         32
        .size:           8
        .value_kind:     by_value
      - .actual_access:  read_only
        .address_space:  global
        .offset:         40
        .size:           8
        .value_kind:     global_buffer
      - .actual_access:  read_only
        .address_space:  global
        .offset:         48
        .size:           8
        .value_kind:     global_buffer
      - .offset:         56
        .size:           4
        .value_kind:     by_value
      - .actual_access:  read_only
        .address_space:  global
        .offset:         64
        .size:           8
        .value_kind:     global_buffer
      - .actual_access:  read_only
        .address_space:  global
        .offset:         72
        .size:           8
        .value_kind:     global_buffer
      - .address_space:  global
        .offset:         80
        .size:           8
        .value_kind:     global_buffer
    .group_segment_fixed_size: 0
    .kernarg_segment_align: 8
    .kernarg_segment_size: 88
    .language:       OpenCL C
    .language_version:
      - 2
      - 0
    .max_flat_workgroup_size: 55
    .name:           fft_rtc_back_len1375_factors_11_5_5_5_wgs_55_tpt_55_halfLds_sp_ip_CI_sbrr_dirReg
    .private_segment_fixed_size: 0
    .sgpr_count:     28
    .sgpr_spill_count: 0
    .symbol:         fft_rtc_back_len1375_factors_11_5_5_5_wgs_55_tpt_55_halfLds_sp_ip_CI_sbrr_dirReg.kd
    .uniform_work_group_size: 1
    .uses_dynamic_stack: false
    .vgpr_count:     123
    .vgpr_spill_count: 0
    .wavefront_size: 64
amdhsa.target:   amdgcn-amd-amdhsa--gfx906
amdhsa.version:
  - 1
  - 2
...

	.end_amdgpu_metadata
